;; amdgpu-corpus repo=ROCm/rocFFT kind=compiled arch=gfx906 opt=O3
	.text
	.amdgcn_target "amdgcn-amd-amdhsa--gfx906"
	.amdhsa_code_object_version 6
	.protected	fft_rtc_back_len3750_factors_3_5_5_10_5_wgs_125_tpt_125_halfLds_sp_op_CI_CI_sbrr_dirReg ; -- Begin function fft_rtc_back_len3750_factors_3_5_5_10_5_wgs_125_tpt_125_halfLds_sp_op_CI_CI_sbrr_dirReg
	.globl	fft_rtc_back_len3750_factors_3_5_5_10_5_wgs_125_tpt_125_halfLds_sp_op_CI_CI_sbrr_dirReg
	.p2align	8
	.type	fft_rtc_back_len3750_factors_3_5_5_10_5_wgs_125_tpt_125_halfLds_sp_op_CI_CI_sbrr_dirReg,@function
fft_rtc_back_len3750_factors_3_5_5_10_5_wgs_125_tpt_125_halfLds_sp_op_CI_CI_sbrr_dirReg: ; @fft_rtc_back_len3750_factors_3_5_5_10_5_wgs_125_tpt_125_halfLds_sp_op_CI_CI_sbrr_dirReg
; %bb.0:
	s_load_dwordx4 s[16:19], s[4:5], 0x18
	s_load_dwordx4 s[12:15], s[4:5], 0x0
	;; [unrolled: 1-line block ×3, first 2 shown]
	v_mul_u32_u24_e32 v1, 0x20d, v0
	v_add_u32_sdwa v3, s6, v1 dst_sel:DWORD dst_unused:UNUSED_PAD src0_sel:DWORD src1_sel:WORD_1
	s_waitcnt lgkmcnt(0)
	s_load_dwordx2 s[20:21], s[16:17], 0x0
	s_load_dwordx2 s[2:3], s[18:19], 0x0
	v_cmp_lt_u64_e64 s[0:1], s[14:15], 2
	v_mov_b32_e32 v1, 0
	v_mov_b32_e32 v32, 0
	;; [unrolled: 1-line block ×3, first 2 shown]
	s_and_b64 vcc, exec, s[0:1]
	v_mov_b32_e32 v33, 0
	s_cbranch_vccnz .LBB0_8
; %bb.1:
	s_load_dwordx2 s[0:1], s[4:5], 0x10
	s_add_u32 s6, s18, 8
	s_addc_u32 s7, s19, 0
	s_add_u32 s22, s16, 8
	s_addc_u32 s23, s17, 0
	v_mov_b32_e32 v32, 0
	s_waitcnt lgkmcnt(0)
	s_add_u32 s24, s0, 8
	v_mov_b32_e32 v33, 0
	v_mov_b32_e32 v8, v32
	s_addc_u32 s25, s1, 0
	s_mov_b64 s[26:27], 1
	v_mov_b32_e32 v9, v33
.LBB0_2:                                ; =>This Inner Loop Header: Depth=1
	s_load_dwordx2 s[28:29], s[24:25], 0x0
                                        ; implicit-def: $vgpr10_vgpr11
	s_waitcnt lgkmcnt(0)
	v_or_b32_e32 v2, s29, v4
	v_cmp_ne_u64_e32 vcc, 0, v[1:2]
	s_and_saveexec_b64 s[0:1], vcc
	s_xor_b64 s[30:31], exec, s[0:1]
	s_cbranch_execz .LBB0_4
; %bb.3:                                ;   in Loop: Header=BB0_2 Depth=1
	v_cvt_f32_u32_e32 v2, s28
	v_cvt_f32_u32_e32 v5, s29
	s_sub_u32 s0, 0, s28
	s_subb_u32 s1, 0, s29
	v_mac_f32_e32 v2, 0x4f800000, v5
	v_rcp_f32_e32 v2, v2
	v_mul_f32_e32 v2, 0x5f7ffffc, v2
	v_mul_f32_e32 v5, 0x2f800000, v2
	v_trunc_f32_e32 v5, v5
	v_mac_f32_e32 v2, 0xcf800000, v5
	v_cvt_u32_f32_e32 v5, v5
	v_cvt_u32_f32_e32 v2, v2
	v_mul_lo_u32 v6, s0, v5
	v_mul_hi_u32 v7, s0, v2
	v_mul_lo_u32 v11, s1, v2
	v_mul_lo_u32 v10, s0, v2
	v_add_u32_e32 v6, v7, v6
	v_add_u32_e32 v6, v6, v11
	v_mul_hi_u32 v7, v2, v10
	v_mul_lo_u32 v11, v2, v6
	v_mul_hi_u32 v13, v2, v6
	v_mul_hi_u32 v12, v5, v10
	v_mul_lo_u32 v10, v5, v10
	v_mul_hi_u32 v14, v5, v6
	v_add_co_u32_e32 v7, vcc, v7, v11
	v_addc_co_u32_e32 v11, vcc, 0, v13, vcc
	v_mul_lo_u32 v6, v5, v6
	v_add_co_u32_e32 v7, vcc, v7, v10
	v_addc_co_u32_e32 v7, vcc, v11, v12, vcc
	v_addc_co_u32_e32 v10, vcc, 0, v14, vcc
	v_add_co_u32_e32 v6, vcc, v7, v6
	v_addc_co_u32_e32 v7, vcc, 0, v10, vcc
	v_add_co_u32_e32 v2, vcc, v2, v6
	v_addc_co_u32_e32 v5, vcc, v5, v7, vcc
	v_mul_lo_u32 v6, s0, v5
	v_mul_hi_u32 v7, s0, v2
	v_mul_lo_u32 v10, s1, v2
	v_mul_lo_u32 v11, s0, v2
	v_add_u32_e32 v6, v7, v6
	v_add_u32_e32 v6, v6, v10
	v_mul_lo_u32 v12, v2, v6
	v_mul_hi_u32 v13, v2, v11
	v_mul_hi_u32 v14, v2, v6
	;; [unrolled: 1-line block ×3, first 2 shown]
	v_mul_lo_u32 v11, v5, v11
	v_mul_hi_u32 v7, v5, v6
	v_add_co_u32_e32 v12, vcc, v13, v12
	v_addc_co_u32_e32 v13, vcc, 0, v14, vcc
	v_mul_lo_u32 v6, v5, v6
	v_add_co_u32_e32 v11, vcc, v12, v11
	v_addc_co_u32_e32 v10, vcc, v13, v10, vcc
	v_addc_co_u32_e32 v7, vcc, 0, v7, vcc
	v_add_co_u32_e32 v6, vcc, v10, v6
	v_addc_co_u32_e32 v7, vcc, 0, v7, vcc
	v_add_co_u32_e32 v2, vcc, v2, v6
	v_addc_co_u32_e32 v7, vcc, v5, v7, vcc
	v_mad_u64_u32 v[5:6], s[0:1], v3, v7, 0
	v_mul_hi_u32 v10, v3, v2
	v_add_co_u32_e32 v12, vcc, v10, v5
	v_addc_co_u32_e32 v13, vcc, 0, v6, vcc
	v_mad_u64_u32 v[5:6], s[0:1], v4, v2, 0
	v_mad_u64_u32 v[10:11], s[0:1], v4, v7, 0
	v_add_co_u32_e32 v2, vcc, v12, v5
	v_addc_co_u32_e32 v2, vcc, v13, v6, vcc
	v_addc_co_u32_e32 v5, vcc, 0, v11, vcc
	v_add_co_u32_e32 v2, vcc, v2, v10
	v_addc_co_u32_e32 v7, vcc, 0, v5, vcc
	v_mul_lo_u32 v10, s29, v2
	v_mul_lo_u32 v11, s28, v7
	v_mad_u64_u32 v[5:6], s[0:1], s28, v2, 0
	v_add3_u32 v6, v6, v11, v10
	v_sub_u32_e32 v10, v4, v6
	v_mov_b32_e32 v11, s29
	v_sub_co_u32_e32 v5, vcc, v3, v5
	v_subb_co_u32_e64 v10, s[0:1], v10, v11, vcc
	v_subrev_co_u32_e64 v11, s[0:1], s28, v5
	v_subbrev_co_u32_e64 v10, s[0:1], 0, v10, s[0:1]
	v_cmp_le_u32_e64 s[0:1], s29, v10
	v_cndmask_b32_e64 v12, 0, -1, s[0:1]
	v_cmp_le_u32_e64 s[0:1], s28, v11
	v_cndmask_b32_e64 v11, 0, -1, s[0:1]
	v_cmp_eq_u32_e64 s[0:1], s29, v10
	v_cndmask_b32_e64 v10, v12, v11, s[0:1]
	v_add_co_u32_e64 v12, s[0:1], 2, v2
	v_addc_co_u32_e64 v11, s[0:1], 0, v7, s[0:1]
	v_add_co_u32_e64 v13, s[0:1], 1, v2
	v_addc_co_u32_e64 v14, s[0:1], 0, v7, s[0:1]
	v_subb_co_u32_e32 v6, vcc, v4, v6, vcc
	v_cmp_ne_u32_e64 s[0:1], 0, v10
	v_cmp_le_u32_e32 vcc, s29, v6
	v_cndmask_b32_e64 v10, v14, v11, s[0:1]
	v_cndmask_b32_e64 v11, 0, -1, vcc
	v_cmp_le_u32_e32 vcc, s28, v5
	v_cndmask_b32_e64 v5, 0, -1, vcc
	v_cmp_eq_u32_e32 vcc, s29, v6
	v_cndmask_b32_e32 v5, v11, v5, vcc
	v_cmp_ne_u32_e32 vcc, 0, v5
	v_cndmask_b32_e64 v5, v13, v12, s[0:1]
	v_cndmask_b32_e32 v11, v7, v10, vcc
	v_cndmask_b32_e32 v10, v2, v5, vcc
.LBB0_4:                                ;   in Loop: Header=BB0_2 Depth=1
	s_andn2_saveexec_b64 s[0:1], s[30:31]
	s_cbranch_execz .LBB0_6
; %bb.5:                                ;   in Loop: Header=BB0_2 Depth=1
	v_cvt_f32_u32_e32 v2, s28
	s_sub_i32 s30, 0, s28
	v_mov_b32_e32 v11, v1
	v_rcp_iflag_f32_e32 v2, v2
	v_mul_f32_e32 v2, 0x4f7ffffe, v2
	v_cvt_u32_f32_e32 v2, v2
	v_mul_lo_u32 v5, s30, v2
	v_mul_hi_u32 v5, v2, v5
	v_add_u32_e32 v2, v2, v5
	v_mul_hi_u32 v2, v3, v2
	v_mul_lo_u32 v5, v2, s28
	v_add_u32_e32 v6, 1, v2
	v_sub_u32_e32 v5, v3, v5
	v_subrev_u32_e32 v7, s28, v5
	v_cmp_le_u32_e32 vcc, s28, v5
	v_cndmask_b32_e32 v5, v5, v7, vcc
	v_cndmask_b32_e32 v2, v2, v6, vcc
	v_add_u32_e32 v6, 1, v2
	v_cmp_le_u32_e32 vcc, s28, v5
	v_cndmask_b32_e32 v10, v2, v6, vcc
.LBB0_6:                                ;   in Loop: Header=BB0_2 Depth=1
	s_or_b64 exec, exec, s[0:1]
	v_mul_lo_u32 v2, v11, s28
	v_mul_lo_u32 v7, v10, s29
	v_mad_u64_u32 v[5:6], s[0:1], v10, s28, 0
	s_load_dwordx2 s[0:1], s[22:23], 0x0
	s_load_dwordx2 s[28:29], s[6:7], 0x0
	v_add3_u32 v2, v6, v7, v2
	v_sub_co_u32_e32 v3, vcc, v3, v5
	v_subb_co_u32_e32 v2, vcc, v4, v2, vcc
	s_waitcnt lgkmcnt(0)
	v_mul_lo_u32 v4, s0, v2
	v_mul_lo_u32 v5, s1, v3
	v_mad_u64_u32 v[32:33], s[0:1], s0, v3, v[32:33]
	v_mul_lo_u32 v2, s28, v2
	v_mul_lo_u32 v6, s29, v3
	v_mad_u64_u32 v[8:9], s[0:1], s28, v3, v[8:9]
	s_add_u32 s26, s26, 1
	s_addc_u32 s27, s27, 0
	s_add_u32 s6, s6, 8
	v_add3_u32 v9, v6, v9, v2
	s_addc_u32 s7, s7, 0
	v_mov_b32_e32 v2, s14
	s_add_u32 s22, s22, 8
	v_mov_b32_e32 v3, s15
	s_addc_u32 s23, s23, 0
	v_cmp_ge_u64_e32 vcc, s[26:27], v[2:3]
	s_add_u32 s24, s24, 8
	v_add3_u32 v33, v5, v33, v4
	s_addc_u32 s25, s25, 0
	s_cbranch_vccnz .LBB0_9
; %bb.7:                                ;   in Loop: Header=BB0_2 Depth=1
	v_mov_b32_e32 v3, v10
	v_mov_b32_e32 v4, v11
	s_branch .LBB0_2
.LBB0_8:
	v_mov_b32_e32 v8, v32
	v_mov_b32_e32 v11, v4
	;; [unrolled: 1-line block ×4, first 2 shown]
.LBB0_9:
	s_load_dwordx2 s[0:1], s[4:5], 0x28
	s_lshl_b64 s[14:15], s[14:15], 3
	s_add_u32 s4, s18, s14
	s_addc_u32 s5, s19, s15
                                        ; implicit-def: $vgpr65
                                        ; implicit-def: $vgpr66
                                        ; implicit-def: $vgpr67
                                        ; implicit-def: $vgpr68
                                        ; implicit-def: $vgpr69
                                        ; implicit-def: $vgpr70
                                        ; implicit-def: $vgpr71
                                        ; implicit-def: $vgpr82
	s_waitcnt lgkmcnt(0)
	v_cmp_gt_u64_e32 vcc, s[0:1], v[10:11]
	v_cmp_le_u64_e64 s[0:1], s[0:1], v[10:11]
	s_and_saveexec_b64 s[6:7], s[0:1]
	s_xor_b64 s[0:1], exec, s[6:7]
; %bb.10:
	s_mov_b32 s6, 0x20c49bb
	v_mul_hi_u32 v1, v0, s6
                                        ; implicit-def: $vgpr32_vgpr33
	v_mul_u32_u24_e32 v1, 0x7d, v1
	v_sub_u32_e32 v65, v0, v1
	v_add_u32_e32 v66, 0x7d, v65
	v_add_u32_e32 v67, 0xfa, v65
	v_add_u32_e32 v68, 0x177, v65
	v_add_u32_e32 v69, 0x1f4, v65
	v_add_u32_e32 v70, 0x271, v65
	v_add_u32_e32 v71, 0x2ee, v65
	v_add_u32_e32 v82, 0x465, v65
                                        ; implicit-def: $vgpr0
; %bb.11:
	s_or_saveexec_b64 s[6:7], s[0:1]
                                        ; implicit-def: $vgpr27
                                        ; implicit-def: $vgpr25
                                        ; implicit-def: $vgpr1
                                        ; implicit-def: $vgpr31
                                        ; implicit-def: $vgpr29
                                        ; implicit-def: $vgpr3
                                        ; implicit-def: $vgpr36
                                        ; implicit-def: $vgpr34
                                        ; implicit-def: $vgpr5
                                        ; implicit-def: $vgpr40
                                        ; implicit-def: $vgpr38
                                        ; implicit-def: $vgpr7
                                        ; implicit-def: $vgpr44
                                        ; implicit-def: $vgpr42
                                        ; implicit-def: $vgpr15
                                        ; implicit-def: $vgpr48
                                        ; implicit-def: $vgpr46
                                        ; implicit-def: $vgpr13
                                        ; implicit-def: $vgpr52
                                        ; implicit-def: $vgpr50
                                        ; implicit-def: $vgpr17
                                        ; implicit-def: $vgpr56
                                        ; implicit-def: $vgpr54
                                        ; implicit-def: $vgpr19
                                        ; implicit-def: $vgpr60
                                        ; implicit-def: $vgpr58
                                        ; implicit-def: $vgpr21
                                        ; implicit-def: $vgpr64
                                        ; implicit-def: $vgpr62
                                        ; implicit-def: $vgpr23
	s_xor_b64 exec, exec, s[6:7]
	s_cbranch_execz .LBB0_13
; %bb.12:
	s_add_u32 s0, s16, s14
	s_mov_b32 s14, 0x20c49bb
	s_addc_u32 s1, s17, s15
	v_mul_hi_u32 v1, v0, s14
	s_load_dwordx2 s[0:1], s[0:1], 0x0
	v_mul_u32_u24_e32 v1, 0x7d, v1
	v_sub_u32_e32 v65, v0, v1
	s_waitcnt lgkmcnt(0)
	v_mul_lo_u32 v6, s1, v10
	v_mad_u64_u32 v[0:1], s[14:15], s20, v65, 0
	v_mul_lo_u32 v7, s0, v11
	v_mad_u64_u32 v[2:3], s[0:1], s0, v10, 0
	v_add_u32_e32 v13, 0x4e2, v65
	v_add_u32_e32 v14, 0x9c4, v65
	v_mad_u64_u32 v[4:5], s[0:1], s21, v65, v[1:2]
	v_add3_u32 v3, v3, v7, v6
	v_lshlrev_b64 v[2:3], 3, v[2:3]
	v_mov_b32_e32 v1, v4
	v_mov_b32_e32 v4, s9
	v_add_co_u32_e64 v5, s[0:1], s8, v2
	v_addc_co_u32_e64 v12, s[0:1], v4, v3, s[0:1]
	v_mad_u64_u32 v[6:7], s[0:1], s20, v13, 0
	v_lshlrev_b64 v[2:3], 3, v[32:33]
	v_lshlrev_b64 v[0:1], 3, v[0:1]
	v_add_co_u32_e64 v4, s[0:1], v5, v2
	v_mov_b32_e32 v2, v7
	v_addc_co_u32_e64 v5, s[0:1], v12, v3, s[0:1]
	v_mad_u64_u32 v[2:3], s[0:1], s21, v13, v[2:3]
	v_mad_u64_u32 v[12:13], s[0:1], s20, v14, 0
	v_mov_b32_e32 v7, v2
	v_add_co_u32_e64 v0, s[0:1], v4, v0
	v_lshlrev_b64 v[2:3], 3, v[6:7]
	v_mov_b32_e32 v6, v13
	v_addc_co_u32_e64 v1, s[0:1], v5, v1, s[0:1]
	v_mad_u64_u32 v[6:7], s[0:1], s21, v14, v[6:7]
	v_add_u32_e32 v66, 0x7d, v65
	v_mad_u64_u32 v[14:15], s[0:1], s20, v66, 0
	v_mov_b32_e32 v13, v6
	v_add_co_u32_e64 v2, s[0:1], v4, v2
	v_lshlrev_b64 v[6:7], 3, v[12:13]
	v_mov_b32_e32 v12, v15
	v_addc_co_u32_e64 v3, s[0:1], v5, v3, s[0:1]
	v_mad_u64_u32 v[12:13], s[0:1], s21, v66, v[12:13]
	v_add_u32_e32 v18, 0x55f, v65
	;; [unrolled: 8-line block ×3, first 2 shown]
	v_mad_u64_u32 v[18:19], s[0:1], s20, v15, 0
	v_add_co_u32_e64 v24, s[0:1], v4, v12
	v_mov_b32_e32 v17, v14
	v_mov_b32_e32 v14, v19
	v_addc_co_u32_e64 v25, s[0:1], v5, v13, s[0:1]
	v_mad_u64_u32 v[14:15], s[0:1], s21, v15, v[14:15]
	v_add_u32_e32 v67, 0xfa, v65
	v_lshlrev_b64 v[12:13], 3, v[16:17]
	v_mad_u64_u32 v[15:16], s[0:1], s20, v67, 0
	v_add_co_u32_e64 v26, s[0:1], v4, v12
	v_mov_b32_e32 v19, v14
	v_mov_b32_e32 v14, v16
	v_addc_co_u32_e64 v27, s[0:1], v5, v13, s[0:1]
	v_lshlrev_b64 v[12:13], 3, v[18:19]
	v_mad_u64_u32 v[16:17], s[0:1], s21, v67, v[14:15]
	v_add_u32_e32 v19, 0x5dc, v65
	v_mad_u64_u32 v[17:18], s[0:1], s20, v19, 0
	v_add_co_u32_e64 v28, s[0:1], v4, v12
	v_mov_b32_e32 v14, v18
	v_addc_co_u32_e64 v29, s[0:1], v5, v13, s[0:1]
	v_lshlrev_b64 v[12:13], 3, v[15:16]
	v_mad_u64_u32 v[14:15], s[0:1], s21, v19, v[14:15]
	v_add_u32_e32 v19, 0xabe, v65
	v_mad_u64_u32 v[15:16], s[0:1], s20, v19, 0
	v_add_co_u32_e64 v30, s[0:1], v4, v12
	v_mov_b32_e32 v18, v14
	v_mov_b32_e32 v14, v16
	v_addc_co_u32_e64 v31, s[0:1], v5, v13, s[0:1]
	v_lshlrev_b64 v[12:13], 3, v[17:18]
	v_mad_u64_u32 v[16:17], s[0:1], s21, v19, v[14:15]
	v_add_u32_e32 v68, 0x177, v65
	v_mad_u64_u32 v[17:18], s[0:1], s20, v68, 0
	v_add_co_u32_e64 v32, s[0:1], v4, v12
	v_mov_b32_e32 v14, v18
	v_addc_co_u32_e64 v33, s[0:1], v5, v13, s[0:1]
	v_lshlrev_b64 v[12:13], 3, v[15:16]
	v_mad_u64_u32 v[14:15], s[0:1], s21, v68, v[14:15]
	v_add_u32_e32 v19, 0x659, v65
	;; [unrolled: 15-line block ×11, first 2 shown]
	v_mad_u64_u32 v[15:16], s[0:1], s20, v19, 0
	v_add_co_u32_e64 v99, s[0:1], v4, v12
	v_mov_b32_e32 v18, v14
	v_mov_b32_e32 v14, v16
	v_addc_co_u32_e64 v100, s[0:1], v5, v13, s[0:1]
	v_lshlrev_b64 v[12:13], 3, v[17:18]
	v_mad_u64_u32 v[16:17], s[0:1], s21, v19, v[14:15]
	v_add_u32_e32 v19, 0xe29, v65
	v_mad_u64_u32 v[17:18], s[0:1], s20, v19, 0
	v_add_co_u32_e64 v101, s[0:1], v4, v12
	v_mov_b32_e32 v14, v18
	v_addc_co_u32_e64 v102, s[0:1], v5, v13, s[0:1]
	v_lshlrev_b64 v[12:13], 3, v[15:16]
	v_mad_u64_u32 v[14:15], s[0:1], s21, v19, v[14:15]
	v_add_co_u32_e64 v103, s[0:1], v4, v12
	v_mov_b32_e32 v18, v14
	v_addc_co_u32_e64 v104, s[0:1], v5, v13, s[0:1]
	v_lshlrev_b64 v[12:13], 3, v[17:18]
	v_add_co_u32_e64 v105, s[0:1], v4, v12
	v_addc_co_u32_e64 v106, s[0:1], v5, v13, s[0:1]
	global_load_dwordx2 v[22:23], v[0:1], off
	global_load_dwordx2 v[61:62], v[2:3], off
	;; [unrolled: 1-line block ×15, first 2 shown]
                                        ; kill: killed $vgpr32 killed $vgpr33
                                        ; kill: killed $vgpr24 killed $vgpr25
                                        ; kill: killed $vgpr0 killed $vgpr1
                                        ; kill: killed $vgpr42 killed $vgpr43
                                        ; kill: killed $vgpr28 killed $vgpr29
                                        ; kill: killed $vgpr6 killed $vgpr7
                                        ; kill: killed $vgpr74 killed $vgpr75
                                        ; kill: killed $vgpr38 killed $vgpr39
                                        ; kill: killed $vgpr30 killed $vgpr31
                                        ; kill: killed $vgpr34 killed $vgpr35
                                        ; kill: killed $vgpr26 killed $vgpr27
                                        ; kill: killed $vgpr2 killed $vgpr3
                                        ; kill: killed $vgpr72 killed $vgpr73
                                        ; kill: killed $vgpr36 killed $vgpr37
                                        ; kill: killed $vgpr40 killed $vgpr41
	global_load_dwordx2 v[14:15], v[76:77], off
	s_nop 0
	global_load_dwordx2 v[41:42], v[78:79], off
	global_load_dwordx2 v[43:44], v[80:81], off
	;; [unrolled: 1-line block ×14, first 2 shown]
.LBB0_13:
	s_or_b64 exec, exec, s[6:7]
	s_waitcnt vmcnt(27)
	v_add_f32_e32 v72, v63, v61
	v_add_f32_e32 v32, v61, v22
	v_fmac_f32_e32 v22, -0.5, v72
	v_sub_f32_e32 v72, v62, v64
	v_mov_b32_e32 v73, v22
	v_fmac_f32_e32 v73, 0xbf5db3d7, v72
	v_fmac_f32_e32 v22, 0x3f5db3d7, v72
	v_add_f32_e32 v72, v62, v23
	v_add_f32_e32 v62, v64, v62
	v_fmac_f32_e32 v23, -0.5, v62
	v_sub_f32_e32 v61, v61, v63
	v_mov_b32_e32 v84, v23
	s_waitcnt vmcnt(24)
	v_add_f32_e32 v62, v59, v57
	v_fmac_f32_e32 v84, 0x3f5db3d7, v61
	v_fmac_f32_e32 v23, 0xbf5db3d7, v61
	v_add_f32_e32 v61, v57, v20
	v_fmac_f32_e32 v20, -0.5, v62
	v_add_f32_e32 v83, v64, v72
	v_sub_f32_e32 v62, v58, v60
	v_mov_b32_e32 v64, v20
	v_fmac_f32_e32 v64, 0xbf5db3d7, v62
	v_fmac_f32_e32 v20, 0x3f5db3d7, v62
	v_add_f32_e32 v62, v58, v21
	v_add_f32_e32 v58, v60, v58
	v_fmac_f32_e32 v21, -0.5, v58
	v_sub_f32_e32 v57, v57, v59
	v_mov_b32_e32 v86, v21
	s_waitcnt vmcnt(21)
	v_add_f32_e32 v58, v55, v53
	v_fmac_f32_e32 v86, 0x3f5db3d7, v57
	v_fmac_f32_e32 v21, 0xbf5db3d7, v57
	v_add_f32_e32 v57, v53, v18
	v_fmac_f32_e32 v18, -0.5, v58
	v_add_f32_e32 v61, v59, v61
	;; [unrolled: 16-line block ×9, first 2 shown]
	v_sub_f32_e32 v29, v25, v27
	v_mov_b32_e32 v30, v0
	v_add_f32_e32 v32, v63, v32
	v_add_f32_e32 v87, v56, v58
	;; [unrolled: 1-line block ×4, first 2 shown]
	v_fmac_f32_e32 v30, 0xbf5db3d7, v29
	v_fmac_f32_e32 v0, 0x3f5db3d7, v29
	v_add_f32_e32 v29, v25, v1
	v_add_f32_e32 v25, v27, v25
	v_mad_u32_u24 v103, v65, 12, 0
	v_mad_i32_i24 v63, v66, 12, 0
	v_mad_i32_i24 v56, v67, 12, 0
	v_mad_i32_i24 v52, v68, 12, 0
	v_mad_i32_i24 v46, v69, 12, 0
	s_load_dwordx2 s[4:5], s[4:5], 0x0
	v_add_f32_e32 v85, v60, v62
	v_fmac_f32_e32 v1, -0.5, v25
	v_sub_f32_e32 v24, v24, v26
	ds_write2_b32 v103, v32, v73 offset1:1
	ds_write_b32 v103, v22 offset:8
	ds_write2_b32 v63, v61, v64 offset1:1
	ds_write_b32 v63, v20 offset:8
	;; [unrolled: 2-line block ×5, first 2 shown]
	v_mad_i32_i24 v51, v70, 12, 0
	v_mad_i32_i24 v62, v71, 12, 0
	v_lshl_add_u32 v53, v65, 2, 0
	v_lshlrev_b32_e32 v64, 3, v71
	v_lshlrev_b32_e32 v71, 3, v66
	v_add_f32_e32 v91, v48, v50
	v_add_f32_e32 v28, v26, v28
	v_mov_b32_e32 v102, v1
	v_fmac_f32_e32 v1, 0xbf5db3d7, v24
	ds_write2_b32 v51, v45, v47 offset1:1
	ds_write_b32 v51, v14 offset:8
	v_add_u32_e32 v18, 0x2904, v103
	v_add_u32_e32 v20, 0x2ee0, v103
	v_mad_i32_i24 v104, v82, 12, 0
	v_add_u32_e32 v55, 0x1400, v53
	v_add_u32_e32 v61, 0x2000, v53
	;; [unrolled: 1-line block ×3, first 2 shown]
	v_sub_u32_e32 v77, v63, v71
	v_add_u32_e32 v54, 0xc00, v53
	v_add_u32_e32 v59, 0x1800, v53
	;; [unrolled: 1-line block ×4, first 2 shown]
	v_lshlrev_b32_e32 v72, 3, v67
	v_lshlrev_b32_e32 v73, 3, v68
	v_add_u32_e32 v47, 0x1000, v53
	v_add_u32_e32 v50, 0x1c00, v53
	;; [unrolled: 1-line block ×4, first 2 shown]
	v_lshlrev_b32_e32 v74, 3, v69
	v_lshlrev_b32_e32 v75, 3, v70
	s_movk_i32 s1, 0xab
	v_add_f32_e32 v95, v40, v42
	v_add_f32_e32 v97, v36, v38
	;; [unrolled: 1-line block ×4, first 2 shown]
	v_fmac_f32_e32 v102, 0x3f5db3d7, v24
	ds_write2_b32 v62, v41, v43 offset1:1
	ds_write_b32 v62, v6 offset:8
	ds_write2_b32 v18, v37, v39 offset1:1
	ds_write_b32 v103, v4 offset:10508
	;; [unrolled: 2-line block ×4, first 2 shown]
	s_waitcnt lgkmcnt(0)
	s_barrier
	ds_read_b32 v12, v53
	v_sub_u32_e32 v76, v62, v64
	ds_read2_b32 v[28:29], v55 offset0:95 offset1:220
	ds_read2_b32 v[26:27], v61 offset0:77 offset1:202
	;; [unrolled: 1-line block ×7, first 2 shown]
	v_sub_u32_e32 v78, v56, v72
	v_sub_u32_e32 v79, v52, v73
	ds_read2_b32 v[36:37], v47 offset0:101 offset1:226
	ds_read2_b32 v[34:35], v50 offset0:83 offset1:208
	;; [unrolled: 1-line block ×4, first 2 shown]
	v_sub_u32_e32 v80, v46, v74
	v_sub_u32_e32 v81, v51, v75
	ds_read_b32 v14, v77
	ds_read_b32 v6, v78
	;; [unrolled: 1-line block ×6, first 2 shown]
	ds_read_b32 v22, v53 offset:14500
	s_waitcnt lgkmcnt(0)
	s_barrier
	ds_write2_b32 v103, v83, v84 offset1:1
	ds_write_b32 v103, v23 offset:8
	ds_write2_b32 v63, v85, v86 offset1:1
	ds_write_b32 v63, v21 offset:8
	;; [unrolled: 2-line block ×10, first 2 shown]
	v_mul_lo_u16_sdwa v1, v66, s1 dst_sel:DWORD dst_unused:UNUSED_PAD src0_sel:BYTE_0 src1_sel:DWORD
	v_lshrrev_b16_e32 v7, 9, v1
	v_mul_lo_u16_e32 v1, 3, v7
	v_mov_b32_e32 v83, 5
	v_sub_u16_e32 v15, v66, v1
	v_lshlrev_b32_sdwa v1, v83, v15 dst_sel:DWORD dst_unused:UNUSED_PAD src0_sel:DWORD src1_sel:BYTE_0
	s_waitcnt lgkmcnt(0)
	s_barrier
	global_load_dwordx4 v[84:87], v1, s[12:13]
	s_mov_b32 s0, 0xaaab
	v_mul_u32_u24_sdwa v3, v67, s0 dst_sel:DWORD dst_unused:UNUSED_PAD src0_sel:WORD_0 src1_sel:DWORD
	v_lshrrev_b32_e32 v5, 17, v3
	v_mul_lo_u16_e32 v3, 3, v5
	v_sub_u16_e32 v17, v67, v3
	v_lshlrev_b32_e32 v3, 5, v17
	global_load_dwordx4 v[88:91], v3, s[12:13]
	global_load_dwordx4 v[92:95], v1, s[12:13] offset:16
	global_load_dwordx4 v[96:99], v3, s[12:13] offset:16
	v_mul_u32_u24_sdwa v1, v68, s0 dst_sel:DWORD dst_unused:UNUSED_PAD src0_sel:WORD_0 src1_sel:DWORD
	v_lshrrev_b32_e32 v3, 17, v1
	v_mul_lo_u16_e32 v1, 3, v3
	v_sub_u16_e32 v21, v68, v1
	v_lshlrev_b32_e32 v1, 5, v21
	global_load_dwordx4 v[100:103], v1, s[12:13]
	global_load_dwordx4 v[104:107], v1, s[12:13] offset:16
	v_mul_u32_u24_sdwa v1, v69, s0 dst_sel:DWORD dst_unused:UNUSED_PAD src0_sel:WORD_0 src1_sel:DWORD
	v_lshrrev_b32_e32 v1, 17, v1
	v_mul_lo_u16_e32 v13, 3, v1
	v_sub_u16_e32 v23, v69, v13
	v_lshlrev_b32_e32 v13, 5, v23
	global_load_dwordx4 v[108:111], v13, s[12:13]
	global_load_dwordx4 v[112:115], v13, s[12:13] offset:16
	ds_read2_b32 v[19:20], v54 offset0:107 offset1:232
	v_mul_lo_u16_sdwa v13, v65, s1 dst_sel:DWORD dst_unused:UNUSED_PAD src0_sel:BYTE_0 src1_sel:DWORD
	v_lshrrev_b16_e32 v18, 9, v13
	v_mul_lo_u16_e32 v13, 3, v18
	ds_read2_b32 v[120:121], v59 offset0:89 offset1:214
	v_sub_u16_e32 v122, v65, v13
	v_lshlrev_b32_sdwa v13, v83, v122 dst_sel:DWORD dst_unused:UNUSED_PAD src0_sel:DWORD src1_sel:BYTE_0
	global_load_dwordx4 v[116:119], v13, s[12:13]
	v_mul_u32_u24_e32 v18, 60, v18
	v_mul_u32_u24_e32 v7, 60, v7
	;; [unrolled: 1-line block ×5, first 2 shown]
	s_movk_i32 s1, 0x89
	s_movk_i32 s6, 0x1000
	s_waitcnt vmcnt(8) lgkmcnt(1)
	v_mul_f32_e32 v123, v19, v85
	v_fmac_f32_e32 v123, v44, v84
	v_mul_f32_e32 v44, v44, v85
	v_fma_f32 v124, v19, v84, -v44
	s_waitcnt lgkmcnt(0)
	v_mul_f32_e32 v125, v120, v87
	v_mul_f32_e32 v19, v42, v87
	v_fmac_f32_e32 v125, v42, v86
	v_fma_f32 v120, v120, v86, -v19
	global_load_dwordx4 v[84:87], v13, s[12:13] offset:16
	s_waitcnt vmcnt(8)
	v_mul_f32_e32 v126, v20, v89
	v_mul_f32_e32 v13, v45, v89
	;; [unrolled: 1-line block ×3, first 2 shown]
	v_fmac_f32_e32 v126, v45, v88
	ds_read2_b32 v[44:45], v57 offset0:71 offset1:196
	v_fma_f32 v127, v20, v88, -v13
	v_fmac_f32_e32 v128, v43, v90
	v_mul_f32_e32 v13, v43, v91
	ds_read2_b32 v[42:43], v58 offset0:53 offset1:178
	v_fma_f32 v121, v121, v90, -v13
	s_waitcnt vmcnt(7)
	v_mul_f32_e32 v13, v40, v93
	s_waitcnt lgkmcnt(1)
	v_mul_f32_e32 v129, v44, v93
	v_fma_f32 v93, v44, v92, -v13
	s_waitcnt lgkmcnt(0)
	v_mul_f32_e32 v130, v42, v95
	v_mul_f32_e32 v13, v38, v95
	s_waitcnt vmcnt(6)
	v_mul_f32_e32 v95, v45, v97
	v_fmac_f32_e32 v129, v40, v92
	v_fmac_f32_e32 v130, v38, v94
	v_fma_f32 v94, v42, v94, -v13
	ds_read2_b32 v[88:89], v47 offset0:101 offset1:226
	v_fmac_f32_e32 v95, v41, v96
	v_mul_f32_e32 v13, v41, v97
	ds_read2_b32 v[40:41], v50 offset0:83 offset1:208
	v_mul_f32_e32 v97, v43, v99
	v_fma_f32 v131, v45, v96, -v13
	v_fmac_f32_e32 v97, v39, v98
	v_mul_f32_e32 v13, v39, v99
	ds_read2_b32 v[38:39], v48 offset0:65 offset1:190
	v_fma_f32 v132, v43, v98, -v13
	ds_read2_b32 v[42:43], v49 offset0:47 offset1:172
	s_waitcnt vmcnt(5)
	v_mul_f32_e32 v13, v36, v101
	s_waitcnt lgkmcnt(3)
	v_fma_f32 v134, v88, v100, -v13
	s_waitcnt lgkmcnt(2)
	v_mul_f32_e32 v135, v40, v103
	v_mul_f32_e32 v13, v34, v103
	v_fmac_f32_e32 v135, v34, v102
	v_fma_f32 v102, v40, v102, -v13
	s_waitcnt vmcnt(4) lgkmcnt(1)
	v_mul_f32_e32 v103, v38, v105
	v_mul_f32_e32 v13, v32, v105
	v_fmac_f32_e32 v103, v32, v104
	v_fma_f32 v32, v38, v104, -v13
	v_mul_f32_e32 v13, v30, v107
	s_waitcnt lgkmcnt(0)
	v_fma_f32 v137, v42, v106, -v13
	s_waitcnt vmcnt(3)
	v_mul_f32_e32 v13, v37, v109
	v_mul_f32_e32 v133, v88, v101
	;; [unrolled: 1-line block ×4, first 2 shown]
	v_fma_f32 v139, v89, v108, -v13
	v_mul_f32_e32 v140, v41, v111
	v_mul_f32_e32 v13, v35, v111
	ds_read2_b32 v[19:20], v55 offset0:95 offset1:220
	v_fmac_f32_e32 v133, v36, v100
	v_fmac_f32_e32 v136, v30, v106
	ds_read2_b32 v[44:45], v61 offset0:77 offset1:202
	v_fmac_f32_e32 v138, v37, v108
	ds_read2_b32 v[90:91], v60 offset0:59 offset1:184
	v_fmac_f32_e32 v140, v35, v110
	v_fma_f32 v141, v41, v110, -v13
	ds_read_b32 v38, v77
	ds_read_b32 v37, v78
	;; [unrolled: 1-line block ×6, first 2 shown]
	ds_read_b32 v88, v53 offset:14500
	s_waitcnt vmcnt(2)
	v_mul_f32_e32 v13, v33, v113
	v_fma_f32 v143, v39, v112, -v13
	v_mul_f32_e32 v13, v31, v115
	v_mul_f32_e32 v144, v43, v115
	v_fma_f32 v115, v43, v114, -v13
	v_mul_u32_u24_sdwa v13, v70, s0 dst_sel:DWORD dst_unused:UNUSED_PAD src0_sel:WORD_0 src1_sel:DWORD
	v_lshrrev_b32_e32 v13, 17, v13
	s_waitcnt vmcnt(1) lgkmcnt(1)
	v_mul_f32_e32 v89, v30, v117
	v_fmac_f32_e32 v144, v31, v114
	v_mul_lo_u16_e32 v31, 3, v13
	v_sub_u16_e32 v43, v70, v31
	v_fmac_f32_e32 v89, v16, v116
	v_mul_f32_e32 v16, v16, v117
	v_lshlrev_b32_e32 v31, 5, v43
	v_fma_f32 v96, v30, v116, -v16
	v_mul_f32_e32 v92, v20, v119
	v_mul_f32_e32 v16, v29, v119
	;; [unrolled: 1-line block ×3, first 2 shown]
	global_load_dwordx4 v[39:42], v31, s[12:13]
	v_fmac_f32_e32 v92, v29, v118
	v_fma_f32 v29, v20, v118, -v16
	s_waitcnt vmcnt(1)
	v_mul_f32_e32 v99, v45, v85
	v_mul_f32_e32 v16, v27, v85
	v_fmac_f32_e32 v99, v27, v84
	v_fma_f32 v27, v45, v84, -v16
	v_mul_f32_e32 v100, v91, v87
	v_mul_f32_e32 v16, v25, v87
	v_fmac_f32_e32 v100, v25, v86
	v_fma_f32 v25, v91, v86, -v16
	global_load_dwordx4 v[84:87], v31, s[12:13] offset:16
	v_mov_b32_e32 v30, 2
	v_lshlrev_b32_sdwa v31, v30, v122 dst_sel:DWORD dst_unused:UNUSED_PAD src0_sel:DWORD src1_sel:BYTE_0
	v_fmac_f32_e32 v142, v33, v112
	ds_read_b32 v33, v53
	v_lshlrev_b32_sdwa v20, v30, v15 dst_sel:DWORD dst_unused:UNUSED_PAD src0_sel:DWORD src1_sel:BYTE_0
	v_lshlrev_b32_e32 v15, 2, v43
	s_waitcnt vmcnt(0) lgkmcnt(0)
	s_barrier
	s_mov_b32 s0, 0x8889
	v_mul_f32_e32 v16, v28, v40
	v_mul_f32_e32 v116, v19, v40
	v_fma_f32 v117, v19, v39, -v16
	v_lshlrev_b32_e32 v19, 2, v17
	v_lshlrev_b32_e32 v17, 2, v21
	v_mul_f32_e32 v21, v26, v42
	v_fma_f32 v119, v44, v41, -v21
	v_lshlrev_b32_e32 v16, 2, v23
	v_mul_f32_e32 v118, v44, v42
	v_fmac_f32_e32 v118, v26, v41
	v_sub_f32_e32 v26, v100, v99
	v_mul_f32_e32 v21, v24, v85
	v_fma_f32 v145, v90, v84, -v21
	v_mul_f32_e32 v21, v22, v87
	v_fma_f32 v146, v88, v86, -v21
	v_add_f32_e32 v21, v12, v89
	v_add_f32_e32 v21, v21, v92
	;; [unrolled: 1-line block ×5, first 2 shown]
	v_fma_f32 v23, -0.5, v21, v12
	v_mul_f32_e32 v122, v90, v85
	v_mul_f32_e32 v85, v88, v87
	v_sub_f32_e32 v21, v96, v25
	v_mov_b32_e32 v107, v23
	v_fmac_f32_e32 v122, v24, v84
	v_fmac_f32_e32 v85, v22, v86
	;; [unrolled: 1-line block ×3, first 2 shown]
	v_sub_f32_e32 v22, v29, v27
	v_sub_f32_e32 v24, v89, v92
	v_fmac_f32_e32 v23, 0x3f737871, v21
	v_fmac_f32_e32 v107, 0xbf167918, v22
	v_add_f32_e32 v24, v24, v26
	v_fmac_f32_e32 v23, 0x3f167918, v22
	v_fmac_f32_e32 v107, 0x3e9e377a, v24
	v_fmac_f32_e32 v23, 0x3e9e377a, v24
	v_add_f32_e32 v24, v89, v100
	v_fmac_f32_e32 v12, -0.5, v24
	v_mov_b32_e32 v112, v12
	v_fmac_f32_e32 v112, 0x3f737871, v22
	v_fmac_f32_e32 v12, 0xbf737871, v22
	v_fmac_f32_e32 v112, 0xbf167918, v21
	v_fmac_f32_e32 v12, 0x3f167918, v21
	v_add_f32_e32 v21, v33, v96
	v_add_f32_e32 v21, v21, v29
	v_add_f32_e32 v21, v21, v27
	v_add_f32_e32 v98, v21, v25
	v_add_f32_e32 v21, v29, v27
	v_sub_f32_e32 v24, v92, v89
	v_sub_f32_e32 v26, v99, v100
	v_fma_f32 v45, -0.5, v21, v33
	v_add_f32_e32 v24, v24, v26
	v_sub_f32_e32 v21, v89, v100
	v_mov_b32_e32 v100, v45
	v_fmac_f32_e32 v112, 0x3e9e377a, v24
	v_fmac_f32_e32 v12, 0x3e9e377a, v24
	v_fmac_f32_e32 v100, 0x3f737871, v21
	v_sub_f32_e32 v22, v92, v99
	v_sub_f32_e32 v24, v96, v29
	v_sub_f32_e32 v26, v25, v27
	v_fmac_f32_e32 v45, 0xbf737871, v21
	v_fmac_f32_e32 v100, 0x3f167918, v22
	v_add_f32_e32 v24, v24, v26
	v_fmac_f32_e32 v45, 0xbf167918, v22
	v_fmac_f32_e32 v100, 0x3e9e377a, v24
	v_fmac_f32_e32 v45, 0x3e9e377a, v24
	v_add_f32_e32 v24, v96, v25
	v_fmac_f32_e32 v33, -0.5, v24
	v_mov_b32_e32 v92, v33
	v_fmac_f32_e32 v92, 0xbf737871, v22
	v_fmac_f32_e32 v33, 0x3f737871, v22
	v_fmac_f32_e32 v92, 0x3f167918, v21
	v_fmac_f32_e32 v33, 0xbf167918, v21
	v_add_f32_e32 v21, v14, v123
	v_add_f32_e32 v21, v21, v125
	v_add_f32_e32 v21, v21, v129
	v_add_f32_e32 v113, v21, v130
	v_add_f32_e32 v21, v125, v129
	v_sub_f32_e32 v24, v29, v96
	v_sub_f32_e32 v25, v27, v25
	v_fma_f32 v26, -0.5, v21, v14
	v_add_f32_e32 v24, v24, v25
	v_sub_f32_e32 v21, v124, v94
	v_mov_b32_e32 v114, v26
	v_fmac_f32_e32 v92, 0x3e9e377a, v24
	v_fmac_f32_e32 v33, 0x3e9e377a, v24
	v_fmac_f32_e32 v114, 0xbf737871, v21
	v_sub_f32_e32 v22, v120, v93
	;; [unrolled: 30-line block ×3, first 2 shown]
	v_sub_f32_e32 v24, v124, v120
	v_sub_f32_e32 v25, v94, v93
	v_fmac_f32_e32 v44, 0xbf737871, v21
	v_fmac_f32_e32 v99, 0x3f167918, v22
	v_add_f32_e32 v24, v24, v25
	v_fmac_f32_e32 v44, 0xbf167918, v22
	v_fmac_f32_e32 v99, 0x3e9e377a, v24
	v_fmac_f32_e32 v44, 0x3e9e377a, v24
	v_add_f32_e32 v24, v124, v94
	v_fmac_f32_e32 v38, -0.5, v24
	v_mov_b32_e32 v90, v38
	v_fmac_f32_e32 v90, 0xbf737871, v22
	v_fmac_f32_e32 v38, 0x3f737871, v22
	;; [unrolled: 1-line block ×4, first 2 shown]
	v_add_f32_e32 v21, v6, v126
	v_add_f32_e32 v21, v21, v128
	;; [unrolled: 1-line block ×3, first 2 shown]
	v_sub_f32_e32 v24, v120, v124
	v_sub_f32_e32 v25, v93, v94
	v_add_f32_e32 v110, v21, v97
	v_add_f32_e32 v21, v128, v95
	;; [unrolled: 1-line block ×3, first 2 shown]
	v_fma_f32 v25, -0.5, v21, v6
	v_sub_f32_e32 v21, v127, v132
	v_mov_b32_e32 v111, v25
	v_fmac_f32_e32 v90, 0x3e9e377a, v24
	v_fmac_f32_e32 v38, 0x3e9e377a, v24
	;; [unrolled: 1-line block ×3, first 2 shown]
	v_sub_f32_e32 v22, v121, v131
	v_sub_f32_e32 v24, v126, v128
	;; [unrolled: 1-line block ×3, first 2 shown]
	v_fmac_f32_e32 v25, 0x3f737871, v21
	v_fmac_f32_e32 v111, 0xbf167918, v22
	v_add_f32_e32 v24, v24, v27
	v_fmac_f32_e32 v25, 0x3f167918, v22
	v_fmac_f32_e32 v111, 0x3e9e377a, v24
	;; [unrolled: 1-line block ×3, first 2 shown]
	v_add_f32_e32 v24, v126, v97
	v_fmac_f32_e32 v6, -0.5, v24
	v_mov_b32_e32 v105, v6
	v_fmac_f32_e32 v105, 0x3f737871, v22
	v_fmac_f32_e32 v6, 0xbf737871, v22
	;; [unrolled: 1-line block ×4, first 2 shown]
	v_add_f32_e32 v21, v37, v127
	v_add_f32_e32 v21, v21, v121
	;; [unrolled: 1-line block ×5, first 2 shown]
	v_sub_f32_e32 v24, v128, v126
	v_sub_f32_e32 v27, v95, v97
	v_fma_f32 v43, -0.5, v21, v37
	v_add_f32_e32 v24, v24, v27
	v_sub_f32_e32 v21, v126, v97
	v_mov_b32_e32 v97, v43
	v_fmac_f32_e32 v105, 0x3e9e377a, v24
	v_fmac_f32_e32 v6, 0x3e9e377a, v24
	;; [unrolled: 1-line block ×3, first 2 shown]
	v_sub_f32_e32 v22, v128, v95
	v_sub_f32_e32 v24, v127, v121
	;; [unrolled: 1-line block ×3, first 2 shown]
	v_fmac_f32_e32 v43, 0xbf737871, v21
	v_fmac_f32_e32 v97, 0x3f167918, v22
	v_add_f32_e32 v24, v24, v27
	v_fmac_f32_e32 v43, 0xbf167918, v22
	v_fmac_f32_e32 v97, 0x3e9e377a, v24
	;; [unrolled: 1-line block ×3, first 2 shown]
	v_add_f32_e32 v24, v127, v132
	v_fmac_f32_e32 v37, -0.5, v24
	v_mov_b32_e32 v88, v37
	v_fmac_f32_e32 v88, 0xbf737871, v22
	v_fmac_f32_e32 v37, 0x3f737871, v22
	v_fmac_f32_e32 v88, 0x3f167918, v21
	v_fmac_f32_e32 v37, 0xbf167918, v21
	v_add_f32_e32 v21, v4, v133
	v_add_f32_e32 v21, v21, v135
	v_sub_f32_e32 v24, v121, v127
	v_sub_f32_e32 v27, v131, v132
	v_add_f32_e32 v21, v21, v103
	v_add_f32_e32 v24, v24, v27
	;; [unrolled: 1-line block ×4, first 2 shown]
	v_fmac_f32_e32 v88, 0x3e9e377a, v24
	v_fmac_f32_e32 v37, 0x3e9e377a, v24
	v_fma_f32 v24, -0.5, v21, v4
	v_sub_f32_e32 v21, v134, v137
	v_mov_b32_e32 v108, v24
	v_fmac_f32_e32 v116, v28, v39
	v_fmac_f32_e32 v108, 0xbf737871, v21
	v_sub_f32_e32 v22, v102, v32
	v_sub_f32_e32 v27, v133, v135
	;; [unrolled: 1-line block ×3, first 2 shown]
	v_fmac_f32_e32 v24, 0x3f737871, v21
	v_fmac_f32_e32 v108, 0xbf167918, v22
	v_add_f32_e32 v27, v27, v28
	v_fmac_f32_e32 v24, 0x3f167918, v22
	v_fmac_f32_e32 v108, 0x3e9e377a, v27
	;; [unrolled: 1-line block ×3, first 2 shown]
	v_add_f32_e32 v27, v133, v136
	v_fmac_f32_e32 v4, -0.5, v27
	v_mov_b32_e32 v101, v4
	v_fmac_f32_e32 v101, 0x3f737871, v22
	v_fmac_f32_e32 v4, 0xbf737871, v22
	;; [unrolled: 1-line block ×4, first 2 shown]
	v_add_f32_e32 v21, v36, v134
	v_add_f32_e32 v21, v21, v102
	;; [unrolled: 1-line block ×5, first 2 shown]
	v_sub_f32_e32 v27, v135, v133
	v_sub_f32_e32 v28, v103, v136
	v_fma_f32 v42, -0.5, v21, v36
	v_add_f32_e32 v27, v27, v28
	v_sub_f32_e32 v21, v133, v136
	v_mov_b32_e32 v95, v42
	v_fmac_f32_e32 v101, 0x3e9e377a, v27
	v_fmac_f32_e32 v4, 0x3e9e377a, v27
	;; [unrolled: 1-line block ×3, first 2 shown]
	v_sub_f32_e32 v22, v135, v103
	v_sub_f32_e32 v27, v134, v102
	;; [unrolled: 1-line block ×3, first 2 shown]
	v_fmac_f32_e32 v42, 0xbf737871, v21
	v_fmac_f32_e32 v95, 0x3f167918, v22
	v_add_f32_e32 v27, v27, v28
	v_fmac_f32_e32 v42, 0xbf167918, v22
	v_fmac_f32_e32 v95, 0x3e9e377a, v27
	;; [unrolled: 1-line block ×3, first 2 shown]
	v_add_f32_e32 v27, v134, v137
	v_fmac_f32_e32 v36, -0.5, v27
	v_mov_b32_e32 v87, v36
	v_fmac_f32_e32 v87, 0xbf737871, v22
	v_fmac_f32_e32 v36, 0x3f737871, v22
	;; [unrolled: 1-line block ×4, first 2 shown]
	v_add_f32_e32 v21, v2, v138
	v_add_f32_e32 v21, v21, v140
	;; [unrolled: 1-line block ×3, first 2 shown]
	v_sub_f32_e32 v27, v102, v134
	v_add_f32_e32 v102, v21, v144
	v_add_f32_e32 v21, v140, v142
	v_sub_f32_e32 v28, v32, v137
	v_fma_f32 v22, -0.5, v21, v2
	v_add_f32_e32 v27, v27, v28
	v_sub_f32_e32 v21, v139, v115
	v_mov_b32_e32 v103, v22
	v_fmac_f32_e32 v87, 0x3e9e377a, v27
	v_fmac_f32_e32 v36, 0x3e9e377a, v27
	;; [unrolled: 1-line block ×3, first 2 shown]
	v_sub_f32_e32 v27, v141, v143
	v_sub_f32_e32 v28, v138, v140
	;; [unrolled: 1-line block ×3, first 2 shown]
	v_fmac_f32_e32 v22, 0x3f737871, v21
	v_fmac_f32_e32 v103, 0xbf167918, v27
	v_add_f32_e32 v28, v28, v29
	v_fmac_f32_e32 v22, 0x3f167918, v27
	v_fmac_f32_e32 v103, 0x3e9e377a, v28
	v_fmac_f32_e32 v22, 0x3e9e377a, v28
	v_add_f32_e32 v28, v138, v144
	v_fmac_f32_e32 v2, -0.5, v28
	v_mov_b32_e32 v28, v2
	v_fmac_f32_e32 v28, 0x3f737871, v27
	v_fmac_f32_e32 v2, 0xbf737871, v27
	;; [unrolled: 1-line block ×4, first 2 shown]
	v_add_f32_e32 v21, v35, v139
	v_add_f32_e32 v21, v21, v141
	;; [unrolled: 1-line block ×5, first 2 shown]
	v_sub_f32_e32 v29, v140, v138
	v_sub_f32_e32 v32, v142, v144
	v_fma_f32 v39, -0.5, v21, v35
	v_add_f32_e32 v29, v29, v32
	v_sub_f32_e32 v21, v138, v144
	v_mov_b32_e32 v93, v39
	v_fmac_f32_e32 v28, 0x3e9e377a, v29
	v_fmac_f32_e32 v2, 0x3e9e377a, v29
	;; [unrolled: 1-line block ×3, first 2 shown]
	v_sub_f32_e32 v27, v140, v142
	v_sub_f32_e32 v29, v139, v141
	;; [unrolled: 1-line block ×3, first 2 shown]
	v_fmac_f32_e32 v39, 0xbf737871, v21
	v_fmac_f32_e32 v93, 0x3f167918, v27
	v_add_f32_e32 v29, v29, v32
	v_fmac_f32_e32 v39, 0xbf167918, v27
	v_fmac_f32_e32 v93, 0x3e9e377a, v29
	;; [unrolled: 1-line block ×3, first 2 shown]
	v_add_f32_e32 v29, v139, v115
	v_fmac_f32_e32 v35, -0.5, v29
	v_mov_b32_e32 v40, v35
	v_fmac_f32_e32 v40, 0xbf737871, v27
	v_fmac_f32_e32 v35, 0x3f737871, v27
	;; [unrolled: 1-line block ×4, first 2 shown]
	v_add_f32_e32 v21, v0, v116
	v_sub_f32_e32 v29, v141, v139
	v_sub_f32_e32 v32, v143, v115
	v_add_f32_e32 v21, v21, v118
	v_add_f32_e32 v29, v29, v32
	;; [unrolled: 1-line block ×3, first 2 shown]
	v_fmac_f32_e32 v40, 0x3e9e377a, v29
	v_fmac_f32_e32 v35, 0x3e9e377a, v29
	v_add_f32_e32 v29, v21, v85
	v_add_f32_e32 v21, v118, v122
	v_fma_f32 v21, -0.5, v21, v0
	v_sub_f32_e32 v41, v117, v146
	v_mov_b32_e32 v32, v21
	v_fmac_f32_e32 v32, 0xbf737871, v41
	v_sub_f32_e32 v84, v119, v145
	v_sub_f32_e32 v27, v116, v118
	;; [unrolled: 1-line block ×3, first 2 shown]
	v_fmac_f32_e32 v21, 0x3f737871, v41
	v_fmac_f32_e32 v32, 0xbf167918, v84
	v_add_f32_e32 v27, v27, v86
	v_fmac_f32_e32 v21, 0x3f167918, v84
	v_fmac_f32_e32 v32, 0x3e9e377a, v27
	;; [unrolled: 1-line block ×3, first 2 shown]
	v_add_f32_e32 v27, v116, v85
	v_fmac_f32_e32 v0, -0.5, v27
	v_mov_b32_e32 v27, v0
	v_fmac_f32_e32 v27, 0x3f737871, v84
	v_fmac_f32_e32 v0, 0xbf737871, v84
	v_fmac_f32_e32 v27, 0xbf167918, v41
	v_fmac_f32_e32 v0, 0x3f167918, v41
	v_add_f32_e32 v41, v34, v117
	v_add_f32_e32 v41, v41, v119
	;; [unrolled: 1-line block ×3, first 2 shown]
	v_sub_f32_e32 v86, v118, v116
	v_sub_f32_e32 v115, v122, v85
	v_add_f32_e32 v84, v41, v146
	v_add_f32_e32 v41, v119, v145
	;; [unrolled: 1-line block ×3, first 2 shown]
	v_fma_f32 v41, -0.5, v41, v34
	v_fmac_f32_e32 v27, 0x3e9e377a, v86
	v_fmac_f32_e32 v0, 0x3e9e377a, v86
	v_sub_f32_e32 v115, v116, v85
	v_mov_b32_e32 v86, v41
	v_fmac_f32_e32 v86, 0x3f737871, v115
	v_sub_f32_e32 v116, v118, v122
	v_sub_f32_e32 v85, v117, v119
	;; [unrolled: 1-line block ×3, first 2 shown]
	v_fmac_f32_e32 v41, 0xbf737871, v115
	v_fmac_f32_e32 v86, 0x3f167918, v116
	v_add_f32_e32 v85, v85, v118
	v_fmac_f32_e32 v41, 0xbf167918, v116
	v_fmac_f32_e32 v86, 0x3e9e377a, v85
	;; [unrolled: 1-line block ×3, first 2 shown]
	v_add_f32_e32 v85, v117, v146
	v_fmac_f32_e32 v34, -0.5, v85
	v_mov_b32_e32 v85, v34
	v_fmac_f32_e32 v85, 0xbf737871, v116
	v_fmac_f32_e32 v34, 0x3f737871, v116
	;; [unrolled: 1-line block ×4, first 2 shown]
	v_add3_u32 v115, 0, v18, v31
	ds_write2_b32 v115, v104, v107 offset1:3
	ds_write2_b32 v115, v112, v12 offset0:6 offset1:9
	ds_write_b32 v115, v23 offset:48
	v_add3_u32 v107, 0, v7, v20
	ds_write2_b32 v107, v113, v114 offset1:3
	ds_write2_b32 v107, v109, v14 offset0:6 offset1:9
	ds_write_b32 v107, v26 offset:48
	v_add3_u32 v109, 0, v5, v19
	v_sub_f32_e32 v117, v119, v117
	v_sub_f32_e32 v118, v145, v146
	ds_write2_b32 v109, v110, v111 offset1:3
	ds_write2_b32 v109, v105, v6 offset0:6 offset1:9
	ds_write_b32 v109, v25 offset:48
	v_add3_u32 v105, 0, v3, v17
	v_add3_u32 v104, 0, v1, v16
	v_mul_u32_u24_e32 v1, 60, v13
	v_add_f32_e32 v117, v117, v118
	ds_write2_b32 v105, v106, v108 offset1:3
	ds_write2_b32 v105, v101, v4 offset0:6 offset1:9
	ds_write_b32 v105, v24 offset:48
	ds_write2_b32 v104, v102, v103 offset1:3
	ds_write2_b32 v104, v28, v2 offset0:6 offset1:9
	ds_write_b32 v104, v22 offset:48
	v_add3_u32 v102, 0, v1, v15
	v_fmac_f32_e32 v85, 0x3e9e377a, v117
	v_fmac_f32_e32 v34, 0x3e9e377a, v117
	ds_write2_b32 v102, v29, v32 offset1:3
	ds_write2_b32 v102, v27, v0 offset0:6 offset1:9
	ds_write_b32 v102, v21 offset:48
	s_waitcnt lgkmcnt(0)
	s_barrier
	ds_read_b32 v32, v53
	ds_read2_b32 v[4:5], v55 offset0:95 offset1:220
	ds_read2_b32 v[2:3], v61 offset0:77 offset1:202
	;; [unrolled: 1-line block ×11, first 2 shown]
	ds_read_b32 v31, v77
	ds_read_b32 v29, v78
	;; [unrolled: 1-line block ×6, first 2 shown]
	ds_read_b32 v101, v53 offset:14500
	s_waitcnt lgkmcnt(0)
	s_barrier
	ds_write2_b32 v115, v98, v100 offset1:3
	ds_write2_b32 v115, v92, v33 offset0:6 offset1:9
	ds_write_b32 v115, v45 offset:48
	ds_write2_b32 v107, v96, v99 offset1:3
	ds_write2_b32 v107, v90, v38 offset0:6 offset1:9
	ds_write_b32 v107, v44 offset:48
	;; [unrolled: 3-line block ×6, first 2 shown]
	v_mul_lo_u16_sdwa v33, v66, s1 dst_sel:DWORD dst_unused:UNUSED_PAD src0_sel:BYTE_0 src1_sel:DWORD
	v_lshrrev_b16_e32 v86, 11, v33
	v_mul_lo_u16_e32 v33, 15, v86
	v_sub_u16_e32 v40, v66, v33
	v_lshlrev_b32_sdwa v37, v83, v40 dst_sel:DWORD dst_unused:UNUSED_PAD src0_sel:DWORD src1_sel:BYTE_0
	v_mul_u32_u24_sdwa v38, v67, s0 dst_sel:DWORD dst_unused:UNUSED_PAD src0_sel:WORD_0 src1_sel:DWORD
	s_waitcnt lgkmcnt(0)
	s_barrier
	global_load_dwordx4 v[33:36], v37, s[12:13] offset:96
	v_lshrrev_b32_e32 v44, 19, v38
	v_mul_lo_u16_e32 v38, 15, v44
	v_sub_u16_e32 v45, v67, v38
	v_lshlrev_b32_e32 v38, 5, v45
	global_load_dwordx4 v[87:90], v38, s[12:13] offset:96
	global_load_dwordx4 v[91:94], v37, s[12:13] offset:112
	;; [unrolled: 1-line block ×3, first 2 shown]
	v_mul_u32_u24_sdwa v37, v68, s0 dst_sel:DWORD dst_unused:UNUSED_PAD src0_sel:WORD_0 src1_sel:DWORD
	v_lshrrev_b32_e32 v41, 19, v37
	v_mul_lo_u16_e32 v37, 15, v41
	v_sub_u16_e32 v85, v68, v37
	v_lshlrev_b32_e32 v37, 5, v85
	global_load_dwordx4 v[104:107], v37, s[12:13] offset:96
	global_load_dwordx4 v[108:111], v37, s[12:13] offset:112
	v_mul_u32_u24_sdwa v37, v69, s0 dst_sel:DWORD dst_unused:UNUSED_PAD src0_sel:WORD_0 src1_sel:DWORD
	v_lshrrev_b32_e32 v37, 19, v37
	v_mul_lo_u16_e32 v38, 15, v37
	v_sub_u16_e32 v99, v69, v38
	v_lshlrev_b32_e32 v38, 5, v99
	global_load_dwordx4 v[112:115], v38, s[12:13] offset:96
	global_load_dwordx4 v[116:119], v38, s[12:13] offset:112
	v_mul_lo_u16_sdwa v42, v65, s1 dst_sel:DWORD dst_unused:UNUSED_PAD src0_sel:BYTE_0 src1_sel:DWORD
	v_lshrrev_b16_e32 v102, 11, v42
	v_mul_lo_u16_e32 v42, 15, v102
	v_sub_u16_e32 v100, v65, v42
	ds_read2_b32 v[42:43], v59 offset0:89 offset1:214
	ds_read2_b32 v[38:39], v54 offset0:107 offset1:232
	v_lshlrev_b32_sdwa v83, v83, v100 dst_sel:DWORD dst_unused:UNUSED_PAD src0_sel:DWORD src1_sel:BYTE_0
	global_load_dwordx4 v[120:123], v83, s[12:13] offset:96
	global_load_dwordx4 v[124:127], v83, s[12:13] offset:112
	ds_read2_b32 v[83:84], v60 offset0:59 offset1:184
	v_mul_u32_u24_e32 v102, 0x12c, v102
	s_waitcnt vmcnt(9) lgkmcnt(2)
	v_mul_f32_e32 v130, v42, v36
	s_waitcnt lgkmcnt(1)
	v_mul_f32_e32 v128, v38, v34
	v_fmac_f32_e32 v130, v22, v35
	v_mul_f32_e32 v22, v22, v36
	v_fmac_f32_e32 v128, v24, v33
	v_mul_f32_e32 v24, v24, v34
	v_fma_f32 v131, v42, v35, -v22
	s_waitcnt vmcnt(8)
	v_mul_f32_e32 v132, v39, v88
	v_mul_f32_e32 v22, v25, v88
	v_fma_f32 v129, v38, v33, -v24
	v_fmac_f32_e32 v132, v25, v87
	ds_read2_b32 v[24:25], v57 offset0:71 offset1:196
	v_fma_f32 v87, v39, v87, -v22
	v_mul_f32_e32 v88, v43, v90
	v_mul_f32_e32 v22, v23, v90
	v_fmac_f32_e32 v88, v23, v89
	v_fma_f32 v89, v43, v89, -v22
	ds_read2_b32 v[22:23], v58 offset0:53 offset1:178
	s_waitcnt vmcnt(7) lgkmcnt(1)
	v_mul_f32_e32 v90, v24, v92
	v_fmac_f32_e32 v90, v20, v91
	v_mul_f32_e32 v20, v20, v92
	s_waitcnt vmcnt(6)
	v_mul_f32_e32 v133, v25, v96
	s_waitcnt lgkmcnt(0)
	v_mul_f32_e32 v92, v22, v94
	v_fmac_f32_e32 v92, v18, v93
	v_mul_f32_e32 v18, v18, v94
	v_fma_f32 v94, v22, v93, -v18
	v_mul_f32_e32 v22, v19, v98
	v_mul_f32_e32 v18, v21, v96
	;; [unrolled: 1-line block ×3, first 2 shown]
	v_fma_f32 v134, v23, v97, -v22
	ds_read2_b32 v[22:23], v49 offset0:47 offset1:172
	v_fma_f32 v91, v24, v91, -v20
	ds_read2_b32 v[33:34], v47 offset0:101 offset1:226
	v_fmac_f32_e32 v133, v21, v95
	ds_read2_b32 v[20:21], v50 offset0:83 offset1:208
	v_fma_f32 v25, v25, v95, -v18
	v_fmac_f32_e32 v96, v19, v97
	ds_read2_b32 v[18:19], v48 offset0:65 offset1:190
	s_waitcnt vmcnt(4) lgkmcnt(3)
	v_mul_f32_e32 v140, v22, v111
	v_fmac_f32_e32 v140, v6, v110
	v_mul_f32_e32 v6, v6, v111
	v_fma_f32 v141, v22, v110, -v6
	s_waitcnt vmcnt(3)
	v_mul_f32_e32 v6, v17, v113
	s_waitcnt lgkmcnt(2)
	v_fma_f32 v143, v34, v112, -v6
	s_waitcnt lgkmcnt(1)
	v_mul_f32_e32 v144, v21, v115
	v_mul_f32_e32 v6, v15, v115
	v_fmac_f32_e32 v144, v15, v114
	v_fma_f32 v114, v21, v114, -v6
	s_waitcnt vmcnt(2) lgkmcnt(0)
	v_mul_f32_e32 v115, v19, v117
	v_mul_f32_e32 v6, v13, v117
	v_fmac_f32_e32 v115, v13, v116
	v_fma_f32 v116, v19, v116, -v6
	v_mul_f32_e32 v117, v23, v119
	v_mul_f32_e32 v6, v7, v119
	v_fmac_f32_e32 v117, v7, v118
	v_fma_f32 v118, v23, v118, -v6
	v_mul_u32_u24_sdwa v6, v70, s0 dst_sel:DWORD dst_unused:UNUSED_PAD src0_sel:WORD_0 src1_sel:DWORD
	v_lshrrev_b32_e32 v6, 19, v6
	v_mul_lo_u16_e32 v7, 15, v6
	v_mul_f32_e32 v135, v33, v105
	v_mul_f32_e32 v137, v20, v107
	;; [unrolled: 1-line block ×3, first 2 shown]
	v_sub_u16_e32 v19, v70, v7
	v_fmac_f32_e32 v135, v16, v104
	v_mul_f32_e32 v16, v16, v105
	v_fmac_f32_e32 v137, v14, v106
	v_mul_f32_e32 v14, v14, v107
	;; [unrolled: 2-line block ×3, first 2 shown]
	v_mul_f32_e32 v142, v34, v113
	v_lshlrev_b32_e32 v7, 5, v19
	ds_read2_b32 v[38:39], v55 offset0:95 offset1:220
	v_fma_f32 v136, v33, v104, -v16
	v_fma_f32 v138, v20, v106, -v14
	;; [unrolled: 1-line block ×3, first 2 shown]
	ds_read2_b32 v[42:43], v61 offset0:77 offset1:202
	v_fmac_f32_e32 v142, v17, v112
	ds_read_b32 v36, v77
	ds_read_b32 v35, v78
	;; [unrolled: 1-line block ×6, first 2 shown]
	ds_read_b32 v93, v53 offset:14500
	global_load_dwordx4 v[14:17], v7, s[12:13] offset:96
	global_load_dwordx4 v[21:24], v7, s[12:13] offset:112
	s_waitcnt vmcnt(3) lgkmcnt(8)
	v_mul_f32_e32 v98, v39, v123
	v_fmac_f32_e32 v98, v5, v122
	v_mul_f32_e32 v5, v5, v123
	s_waitcnt vmcnt(2) lgkmcnt(7)
	v_mul_f32_e32 v104, v43, v125
	s_waitcnt lgkmcnt(1)
	v_mul_f32_e32 v95, v20, v121
	v_fmac_f32_e32 v104, v3, v124
	v_mul_f32_e32 v3, v3, v125
	v_fmac_f32_e32 v95, v103, v120
	v_fma_f32 v43, v43, v124, -v3
	v_mul_f32_e32 v105, v84, v127
	v_fmac_f32_e32 v105, v1, v126
	v_mul_f32_e32 v13, v103, v121
	v_mul_f32_e32 v1, v1, v127
	v_fma_f32 v97, v20, v120, -v13
	v_fma_f32 v84, v84, v126, -v1
	;; [unrolled: 1-line block ×3, first 2 shown]
	ds_read_b32 v13, v53
	v_lshlrev_b32_e32 v3, 2, v99
	v_lshlrev_b32_e32 v5, 2, v45
	v_lshlrev_b32_sdwa v20, v30, v100 dst_sel:DWORD dst_unused:UNUSED_PAD src0_sel:DWORD src1_sel:BYTE_0
	v_lshlrev_b32_e32 v1, 2, v19
	v_sub_f32_e32 v19, v96, v133
	v_lshlrev_b32_sdwa v7, v30, v40 dst_sel:DWORD dst_unused:UNUSED_PAD src0_sel:DWORD src1_sel:BYTE_0
	s_waitcnt vmcnt(0) lgkmcnt(0)
	s_barrier
	s_movk_i32 s0, 0x4b
	v_cmp_gt_u32_e64 s[0:1], s0, v65
	v_mul_f32_e32 v119, v38, v15
	v_mul_f32_e32 v123, v83, v22
	v_fmac_f32_e32 v123, v0, v21
	v_mul_f32_e32 v0, v0, v22
	v_fma_f32 v124, v83, v21, -v0
	v_mul_f32_e32 v0, v101, v24
	v_fma_f32 v125, v93, v23, -v0
	v_add_f32_e32 v0, v32, v95
	v_add_f32_e32 v0, v0, v98
	v_add_f32_e32 v0, v0, v104
	v_mul_f32_e32 v15, v4, v15
	v_add_f32_e32 v103, v0, v105
	v_add_f32_e32 v0, v98, v104
	v_fmac_f32_e32 v119, v4, v14
	v_fma_f32 v120, v38, v14, -v15
	v_mul_f32_e32 v121, v42, v17
	v_fma_f32 v14, -0.5, v0, v32
	v_fmac_f32_e32 v121, v2, v16
	v_mul_f32_e32 v2, v2, v17
	v_sub_f32_e32 v0, v97, v84
	v_mov_b32_e32 v106, v14
	v_fma_f32 v122, v42, v16, -v2
	v_fmac_f32_e32 v106, 0xbf737871, v0
	v_sub_f32_e32 v2, v39, v43
	v_sub_f32_e32 v15, v95, v98
	;; [unrolled: 1-line block ×3, first 2 shown]
	v_fmac_f32_e32 v14, 0x3f737871, v0
	v_fmac_f32_e32 v106, 0xbf167918, v2
	v_add_f32_e32 v15, v15, v16
	v_fmac_f32_e32 v14, 0x3f167918, v2
	v_fmac_f32_e32 v106, 0x3e9e377a, v15
	;; [unrolled: 1-line block ×3, first 2 shown]
	v_add_f32_e32 v15, v95, v105
	v_fmac_f32_e32 v32, -0.5, v15
	v_mov_b32_e32 v111, v32
	v_fmac_f32_e32 v111, 0x3f737871, v2
	v_fmac_f32_e32 v32, 0xbf737871, v2
	;; [unrolled: 1-line block ×4, first 2 shown]
	v_add_f32_e32 v0, v13, v97
	v_add_f32_e32 v0, v0, v39
	v_add_f32_e32 v0, v0, v43
	v_add_f32_e32 v99, v0, v84
	v_add_f32_e32 v0, v39, v43
	v_mul_f32_e32 v83, v93, v24
	v_sub_f32_e32 v15, v98, v95
	v_sub_f32_e32 v16, v104, v105
	v_fma_f32 v45, -0.5, v0, v13
	v_fmac_f32_e32 v83, v101, v23
	v_add_f32_e32 v15, v15, v16
	v_sub_f32_e32 v0, v95, v105
	v_mov_b32_e32 v101, v45
	v_fmac_f32_e32 v111, 0x3e9e377a, v15
	v_fmac_f32_e32 v32, 0x3e9e377a, v15
	;; [unrolled: 1-line block ×3, first 2 shown]
	v_sub_f32_e32 v2, v98, v104
	v_sub_f32_e32 v15, v97, v39
	;; [unrolled: 1-line block ×3, first 2 shown]
	v_fmac_f32_e32 v45, 0xbf737871, v0
	v_fmac_f32_e32 v101, 0x3f167918, v2
	v_add_f32_e32 v15, v15, v16
	v_fmac_f32_e32 v45, 0xbf167918, v2
	v_fmac_f32_e32 v101, 0x3e9e377a, v15
	;; [unrolled: 1-line block ×3, first 2 shown]
	v_add_f32_e32 v15, v97, v84
	v_fmac_f32_e32 v13, -0.5, v15
	v_mov_b32_e32 v93, v13
	v_fmac_f32_e32 v93, 0xbf737871, v2
	v_fmac_f32_e32 v13, 0x3f737871, v2
	;; [unrolled: 1-line block ×4, first 2 shown]
	v_add_f32_e32 v0, v31, v128
	v_add_f32_e32 v0, v0, v130
	;; [unrolled: 1-line block ×5, first 2 shown]
	v_sub_f32_e32 v15, v39, v97
	v_sub_f32_e32 v16, v43, v84
	v_fma_f32 v17, -0.5, v0, v31
	v_add_f32_e32 v15, v15, v16
	v_sub_f32_e32 v0, v129, v94
	v_mov_b32_e32 v113, v17
	v_fmac_f32_e32 v93, 0x3e9e377a, v15
	v_fmac_f32_e32 v13, 0x3e9e377a, v15
	;; [unrolled: 1-line block ×3, first 2 shown]
	v_sub_f32_e32 v2, v131, v91
	v_sub_f32_e32 v15, v128, v130
	;; [unrolled: 1-line block ×3, first 2 shown]
	v_fmac_f32_e32 v17, 0x3f737871, v0
	v_fmac_f32_e32 v113, 0xbf167918, v2
	v_add_f32_e32 v15, v15, v16
	v_fmac_f32_e32 v17, 0x3f167918, v2
	v_fmac_f32_e32 v113, 0x3e9e377a, v15
	;; [unrolled: 1-line block ×3, first 2 shown]
	v_add_f32_e32 v15, v128, v92
	v_fmac_f32_e32 v31, -0.5, v15
	v_mov_b32_e32 v108, v31
	v_fmac_f32_e32 v108, 0x3f737871, v2
	v_fmac_f32_e32 v31, 0xbf737871, v2
	;; [unrolled: 1-line block ×4, first 2 shown]
	v_add_f32_e32 v0, v36, v129
	v_add_f32_e32 v0, v0, v131
	;; [unrolled: 1-line block ×5, first 2 shown]
	v_sub_f32_e32 v15, v130, v128
	v_sub_f32_e32 v16, v90, v92
	v_fma_f32 v43, -0.5, v0, v36
	v_add_f32_e32 v15, v15, v16
	v_sub_f32_e32 v0, v128, v92
	v_mov_b32_e32 v100, v43
	v_fmac_f32_e32 v108, 0x3e9e377a, v15
	v_fmac_f32_e32 v31, 0x3e9e377a, v15
	;; [unrolled: 1-line block ×3, first 2 shown]
	v_sub_f32_e32 v2, v130, v90
	v_sub_f32_e32 v15, v129, v131
	;; [unrolled: 1-line block ×3, first 2 shown]
	v_fmac_f32_e32 v43, 0xbf737871, v0
	v_fmac_f32_e32 v100, 0x3f167918, v2
	v_add_f32_e32 v15, v15, v16
	v_fmac_f32_e32 v43, 0xbf167918, v2
	v_fmac_f32_e32 v100, 0x3e9e377a, v15
	;; [unrolled: 1-line block ×3, first 2 shown]
	v_add_f32_e32 v15, v129, v94
	v_fmac_f32_e32 v36, -0.5, v15
	v_mov_b32_e32 v90, v36
	v_fmac_f32_e32 v90, 0xbf737871, v2
	v_fmac_f32_e32 v36, 0x3f737871, v2
	;; [unrolled: 1-line block ×4, first 2 shown]
	v_add_f32_e32 v0, v29, v132
	v_add_f32_e32 v0, v0, v88
	;; [unrolled: 1-line block ×3, first 2 shown]
	v_sub_f32_e32 v15, v131, v129
	v_sub_f32_e32 v16, v91, v94
	v_add_f32_e32 v109, v0, v96
	v_add_f32_e32 v0, v88, v133
	;; [unrolled: 1-line block ×3, first 2 shown]
	v_fma_f32 v16, -0.5, v0, v29
	v_sub_f32_e32 v0, v87, v134
	v_mov_b32_e32 v110, v16
	v_fmac_f32_e32 v90, 0x3e9e377a, v15
	v_fmac_f32_e32 v36, 0x3e9e377a, v15
	;; [unrolled: 1-line block ×3, first 2 shown]
	v_sub_f32_e32 v2, v89, v25
	v_sub_f32_e32 v15, v132, v88
	v_fmac_f32_e32 v16, 0x3f737871, v0
	v_fmac_f32_e32 v110, 0xbf167918, v2
	v_add_f32_e32 v15, v15, v19
	v_fmac_f32_e32 v16, 0x3f167918, v2
	v_fmac_f32_e32 v110, 0x3e9e377a, v15
	;; [unrolled: 1-line block ×3, first 2 shown]
	v_add_f32_e32 v15, v132, v96
	v_fmac_f32_e32 v29, -0.5, v15
	v_mov_b32_e32 v104, v29
	v_fmac_f32_e32 v104, 0x3f737871, v2
	v_fmac_f32_e32 v29, 0xbf737871, v2
	v_fmac_f32_e32 v104, 0xbf167918, v0
	v_fmac_f32_e32 v29, 0x3f167918, v0
	v_add_f32_e32 v0, v35, v87
	v_add_f32_e32 v0, v0, v89
	;; [unrolled: 1-line block ×5, first 2 shown]
	v_sub_f32_e32 v15, v88, v132
	v_sub_f32_e32 v19, v133, v96
	v_fma_f32 v42, -0.5, v0, v35
	v_add_f32_e32 v15, v15, v19
	v_sub_f32_e32 v0, v132, v96
	v_mov_b32_e32 v98, v42
	v_fmac_f32_e32 v104, 0x3e9e377a, v15
	v_fmac_f32_e32 v29, 0x3e9e377a, v15
	;; [unrolled: 1-line block ×3, first 2 shown]
	v_sub_f32_e32 v2, v88, v133
	v_sub_f32_e32 v15, v87, v89
	;; [unrolled: 1-line block ×3, first 2 shown]
	v_fmac_f32_e32 v42, 0xbf737871, v0
	v_fmac_f32_e32 v98, 0x3f167918, v2
	v_add_f32_e32 v15, v15, v19
	v_fmac_f32_e32 v42, 0xbf167918, v2
	v_fmac_f32_e32 v98, 0x3e9e377a, v15
	;; [unrolled: 1-line block ×3, first 2 shown]
	v_add_f32_e32 v15, v87, v134
	v_fmac_f32_e32 v35, -0.5, v15
	v_mov_b32_e32 v88, v35
	v_fmac_f32_e32 v88, 0xbf737871, v2
	v_fmac_f32_e32 v35, 0x3f737871, v2
	;; [unrolled: 1-line block ×4, first 2 shown]
	v_add_f32_e32 v0, v28, v135
	v_add_f32_e32 v0, v0, v137
	v_sub_f32_e32 v15, v89, v87
	v_sub_f32_e32 v19, v25, v134
	v_add_f32_e32 v0, v0, v139
	v_add_f32_e32 v15, v15, v19
	;; [unrolled: 1-line block ×4, first 2 shown]
	v_fmac_f32_e32 v88, 0x3e9e377a, v15
	v_fmac_f32_e32 v35, 0x3e9e377a, v15
	v_fma_f32 v15, -0.5, v0, v28
	v_sub_f32_e32 v0, v136, v141
	v_mov_b32_e32 v107, v15
	v_fmac_f32_e32 v107, 0xbf737871, v0
	v_sub_f32_e32 v2, v138, v18
	v_sub_f32_e32 v19, v135, v137
	;; [unrolled: 1-line block ×3, first 2 shown]
	v_fmac_f32_e32 v15, 0x3f737871, v0
	v_fmac_f32_e32 v107, 0xbf167918, v2
	v_add_f32_e32 v19, v19, v21
	v_fmac_f32_e32 v15, 0x3f167918, v2
	v_fmac_f32_e32 v107, 0x3e9e377a, v19
	;; [unrolled: 1-line block ×3, first 2 shown]
	v_add_f32_e32 v19, v135, v140
	v_fmac_f32_e32 v28, -0.5, v19
	v_mov_b32_e32 v23, v28
	v_fmac_f32_e32 v23, 0x3f737871, v2
	v_fmac_f32_e32 v28, 0xbf737871, v2
	v_fmac_f32_e32 v23, 0xbf167918, v0
	v_fmac_f32_e32 v28, 0x3f167918, v0
	v_add_f32_e32 v0, v34, v136
	v_add_f32_e32 v0, v0, v138
	;; [unrolled: 1-line block ×5, first 2 shown]
	v_sub_f32_e32 v19, v137, v135
	v_sub_f32_e32 v21, v139, v140
	v_fma_f32 v40, -0.5, v0, v34
	v_add_f32_e32 v19, v19, v21
	v_sub_f32_e32 v0, v135, v140
	v_mov_b32_e32 v96, v40
	v_fmac_f32_e32 v23, 0x3e9e377a, v19
	v_fmac_f32_e32 v28, 0x3e9e377a, v19
	v_fmac_f32_e32 v96, 0x3f737871, v0
	v_sub_f32_e32 v2, v137, v139
	v_sub_f32_e32 v19, v136, v138
	;; [unrolled: 1-line block ×3, first 2 shown]
	v_fmac_f32_e32 v40, 0xbf737871, v0
	v_fmac_f32_e32 v96, 0x3f167918, v2
	v_add_f32_e32 v19, v19, v21
	v_fmac_f32_e32 v40, 0xbf167918, v2
	v_fmac_f32_e32 v96, 0x3e9e377a, v19
	;; [unrolled: 1-line block ×3, first 2 shown]
	v_add_f32_e32 v19, v136, v141
	v_fmac_f32_e32 v34, -0.5, v19
	v_lshlrev_b32_e32 v4, 2, v85
	v_mov_b32_e32 v85, v34
	v_fmac_f32_e32 v85, 0xbf737871, v2
	v_fmac_f32_e32 v34, 0x3f737871, v2
	;; [unrolled: 1-line block ×4, first 2 shown]
	v_add_f32_e32 v0, v27, v142
	v_add_f32_e32 v0, v0, v144
	;; [unrolled: 1-line block ×5, first 2 shown]
	v_sub_f32_e32 v19, v138, v136
	v_sub_f32_e32 v18, v18, v141
	v_fma_f32 v2, -0.5, v0, v27
	v_add_f32_e32 v18, v19, v18
	v_sub_f32_e32 v0, v143, v118
	v_mov_b32_e32 v25, v2
	v_fmac_f32_e32 v85, 0x3e9e377a, v18
	v_fmac_f32_e32 v34, 0x3e9e377a, v18
	;; [unrolled: 1-line block ×3, first 2 shown]
	v_sub_f32_e32 v18, v114, v116
	v_sub_f32_e32 v19, v142, v144
	;; [unrolled: 1-line block ×3, first 2 shown]
	v_fmac_f32_e32 v2, 0x3f737871, v0
	v_fmac_f32_e32 v25, 0xbf167918, v18
	v_add_f32_e32 v19, v19, v21
	v_fmac_f32_e32 v2, 0x3f167918, v18
	v_fmac_f32_e32 v25, 0x3e9e377a, v19
	;; [unrolled: 1-line block ×3, first 2 shown]
	v_add_f32_e32 v19, v142, v117
	v_fmac_f32_e32 v27, -0.5, v19
	v_mov_b32_e32 v19, v27
	v_fmac_f32_e32 v19, 0x3f737871, v18
	v_fmac_f32_e32 v27, 0xbf737871, v18
	;; [unrolled: 1-line block ×4, first 2 shown]
	v_add_f32_e32 v0, v33, v143
	v_add_f32_e32 v0, v0, v114
	;; [unrolled: 1-line block ×5, first 2 shown]
	v_sub_f32_e32 v21, v144, v142
	v_sub_f32_e32 v22, v115, v117
	v_fma_f32 v39, -0.5, v0, v33
	v_add_f32_e32 v21, v21, v22
	v_sub_f32_e32 v0, v142, v117
	v_mov_b32_e32 v94, v39
	v_fmac_f32_e32 v19, 0x3e9e377a, v21
	v_fmac_f32_e32 v27, 0x3e9e377a, v21
	;; [unrolled: 1-line block ×3, first 2 shown]
	v_sub_f32_e32 v18, v144, v115
	v_sub_f32_e32 v21, v143, v114
	;; [unrolled: 1-line block ×3, first 2 shown]
	v_fmac_f32_e32 v39, 0xbf737871, v0
	v_fmac_f32_e32 v94, 0x3f167918, v18
	v_add_f32_e32 v21, v21, v22
	v_fmac_f32_e32 v39, 0xbf167918, v18
	v_fmac_f32_e32 v94, 0x3e9e377a, v21
	;; [unrolled: 1-line block ×3, first 2 shown]
	v_add_f32_e32 v21, v143, v118
	v_fmac_f32_e32 v33, -0.5, v21
	v_mov_b32_e32 v84, v33
	v_fmac_f32_e32 v84, 0xbf737871, v18
	v_fmac_f32_e32 v33, 0x3f737871, v18
	;; [unrolled: 1-line block ×4, first 2 shown]
	v_add_f32_e32 v0, v26, v119
	v_sub_f32_e32 v21, v114, v143
	v_sub_f32_e32 v22, v116, v118
	v_add_f32_e32 v0, v0, v121
	v_add_f32_e32 v21, v21, v22
	v_add_f32_e32 v0, v0, v123
	v_fmac_f32_e32 v84, 0x3e9e377a, v21
	v_fmac_f32_e32 v33, 0x3e9e377a, v21
	v_add_f32_e32 v21, v0, v83
	v_add_f32_e32 v0, v121, v123
	v_fma_f32 v0, -0.5, v0, v26
	v_sub_f32_e32 v38, v120, v125
	v_mov_b32_e32 v22, v0
	v_fmac_f32_e32 v22, 0xbf737871, v38
	v_sub_f32_e32 v87, v122, v124
	v_sub_f32_e32 v18, v119, v121
	;; [unrolled: 1-line block ×3, first 2 shown]
	v_fmac_f32_e32 v0, 0x3f737871, v38
	v_fmac_f32_e32 v22, 0xbf167918, v87
	v_add_f32_e32 v18, v18, v91
	v_fmac_f32_e32 v0, 0x3f167918, v87
	v_fmac_f32_e32 v22, 0x3e9e377a, v18
	;; [unrolled: 1-line block ×3, first 2 shown]
	v_add_f32_e32 v18, v119, v83
	v_fmac_f32_e32 v26, -0.5, v18
	v_mov_b32_e32 v18, v26
	v_fmac_f32_e32 v18, 0x3f737871, v87
	v_fmac_f32_e32 v26, 0xbf737871, v87
	;; [unrolled: 1-line block ×4, first 2 shown]
	v_add_f32_e32 v38, v12, v120
	v_add_f32_e32 v38, v38, v122
	;; [unrolled: 1-line block ×3, first 2 shown]
	v_sub_f32_e32 v91, v121, v119
	v_sub_f32_e32 v114, v123, v83
	v_add_f32_e32 v87, v38, v125
	v_add_f32_e32 v38, v122, v124
	;; [unrolled: 1-line block ×3, first 2 shown]
	v_fma_f32 v38, -0.5, v38, v12
	v_fmac_f32_e32 v18, 0x3e9e377a, v91
	v_fmac_f32_e32 v26, 0x3e9e377a, v91
	v_sub_f32_e32 v114, v119, v83
	v_mov_b32_e32 v91, v38
	v_fmac_f32_e32 v91, 0x3f737871, v114
	v_sub_f32_e32 v115, v121, v123
	v_sub_f32_e32 v83, v120, v122
	;; [unrolled: 1-line block ×3, first 2 shown]
	v_fmac_f32_e32 v38, 0xbf737871, v114
	v_fmac_f32_e32 v91, 0x3f167918, v115
	v_add_f32_e32 v83, v83, v116
	v_fmac_f32_e32 v38, 0xbf167918, v115
	v_fmac_f32_e32 v91, 0x3e9e377a, v83
	;; [unrolled: 1-line block ×3, first 2 shown]
	v_add_f32_e32 v83, v120, v125
	v_fmac_f32_e32 v12, -0.5, v83
	v_mov_b32_e32 v83, v12
	v_fmac_f32_e32 v83, 0xbf737871, v115
	v_fmac_f32_e32 v12, 0x3f737871, v115
	v_add3_u32 v115, 0, v102, v20
	ds_write2_b32 v115, v103, v106 offset1:15
	ds_write2_b32 v115, v111, v32 offset0:30 offset1:45
	ds_write_b32 v115, v14 offset:240
	v_mul_u32_u24_e32 v14, 0x12c, v86
	v_sub_f32_e32 v116, v122, v120
	v_sub_f32_e32 v117, v124, v125
	v_add3_u32 v32, 0, v14, v7
	v_mul_u32_u24_e32 v7, 0x12c, v44
	v_fmac_f32_e32 v83, 0x3f167918, v114
	v_add_f32_e32 v116, v116, v117
	v_fmac_f32_e32 v12, 0xbf167918, v114
	ds_write2_b32 v32, v112, v113 offset1:15
	ds_write2_b32 v32, v108, v31 offset0:30 offset1:45
	ds_write_b32 v32, v17 offset:240
	v_add3_u32 v31, 0, v7, v5
	v_mul_u32_u24_e32 v5, 0x12c, v41
	v_fmac_f32_e32 v83, 0x3e9e377a, v116
	v_fmac_f32_e32 v12, 0x3e9e377a, v116
	v_add3_u32 v116, 0, v5, v4
	v_mul_u32_u24_e32 v4, 0x12c, v37
	v_add3_u32 v117, 0, v4, v3
	ds_write2_b32 v31, v109, v110 offset1:15
	ds_write2_b32 v31, v104, v29 offset0:30 offset1:45
	ds_write_b32 v31, v16 offset:240
	ds_write2_b32 v116, v105, v107 offset1:15
	ds_write2_b32 v116, v23, v28 offset0:30 offset1:45
	ds_write_b32 v116, v15 offset:240
	;; [unrolled: 3-line block ×3, first 2 shown]
	v_mul_u32_u24_e32 v2, 0x12c, v6
	v_add3_u32 v118, 0, v2, v1
	v_lshl_add_u32 v106, v82, 2, 0
	v_add_u32_e32 v107, 0x1600, v53
	v_add_u32_e32 v108, 0x1a00, v53
	;; [unrolled: 1-line block ×11, first 2 shown]
	ds_write2_b32 v118, v21, v22 offset1:15
	ds_write2_b32 v118, v18, v26 offset0:30 offset1:45
	ds_write_b32 v118, v0 offset:240
	s_waitcnt lgkmcnt(0)
	s_barrier
	ds_read_b32 v103, v106
	ds_read2_b32 v[28:29], v107 offset0:92 offset1:217
	ds_read2_b32 v[16:17], v108 offset0:86 offset1:211
	;; [unrolled: 1-line block ×6, first 2 shown]
	ds_read_b32 v41, v53
	ds_read_b32 v110, v76
	;; [unrolled: 1-line block ×3, first 2 shown]
	ds_read2_b32 v[24:25], v113 offset0:116 offset1:241
	ds_read2_b32 v[22:23], v54 offset0:107 offset1:232
	;; [unrolled: 1-line block ×6, first 2 shown]
	ds_read_b32 v114, v79
	ds_read_b32 v86, v78
	s_waitcnt lgkmcnt(0)
	s_barrier
	ds_write2_b32 v115, v99, v101 offset1:15
	ds_write2_b32 v115, v93, v13 offset0:30 offset1:45
	ds_write_b32 v115, v45 offset:240
	ds_write2_b32 v32, v97, v100 offset1:15
	ds_write2_b32 v32, v90, v36 offset0:30 offset1:45
	ds_write_b32 v32, v43 offset:240
	;; [unrolled: 3-line block ×6, first 2 shown]
	v_add_u32_e32 v12, 0xffffffb5, v65
	v_cndmask_b32_e64 v33, v12, v65, s[0:1]
	v_mul_i32_i24_e32 v12, 9, v33
	v_mov_b32_e32 v13, 0
	v_lshlrev_b64 v[31:32], 3, v[12:13]
	v_mov_b32_e32 v12, s13
	v_add_co_u32_e64 v87, s[0:1], s12, v31
	v_addc_co_u32_e64 v88, s[0:1], v12, v32, s[0:1]
	s_waitcnt lgkmcnt(0)
	s_barrier
	global_load_dwordx4 v[91:94], v[87:88], off offset:576
	global_load_dwordx4 v[96:99], v[87:88], off offset:592
	;; [unrolled: 1-line block ×4, first 2 shown]
	s_movk_i32 s0, 0xdb
	v_mul_lo_u16_sdwa v12, v66, s0 dst_sel:DWORD dst_unused:UNUSED_PAD src0_sel:BYTE_0 src1_sel:DWORD
	v_lshrrev_b16_e32 v32, 14, v12
	v_mul_lo_u16_e32 v12, 0x4b, v32
	v_sub_u16_e32 v31, v66, v12
	v_mov_b32_e32 v12, 9
	v_mul_u32_u24_sdwa v12, v31, v12 dst_sel:DWORD dst_unused:UNUSED_PAD src0_sel:BYTE_0 src1_sel:DWORD
	v_lshlrev_b32_e32 v135, 3, v12
	global_load_dwordx4 v[123:126], v135, s[12:13] offset:576
	ds_read_b32 v12, v79
	ds_read_b32 v35, v106
	ds_read2_b32 v[83:84], v107 offset0:92 offset1:217
	ds_read2_b32 v[127:128], v108 offset0:86 offset1:211
	ds_read2_b32 v[100:101], v109 offset0:74 offset1:199
	ds_read2_b32 v[129:130], v111 offset0:68 offset1:193
	ds_read2_b32 v[111:112], v112 offset0:56 offset1:181
	ds_read_b32 v39, v76
	ds_read_b32 v34, v77
	ds_read2_b32 v[131:132], v113 offset0:116 offset1:241
	ds_read2_b32 v[133:134], v54 offset0:107 offset1:232
	ds_read_b32 v90, v78
	global_load_dwordx4 v[106:109], v135, s[12:13] offset:608
	s_mov_b32 s0, 0xb4e9
	v_lshlrev_b32_e32 v33, 2, v33
	v_mul_u32_u24_e32 v32, 0xbb8, v32
	v_lshlrev_b32_sdwa v30, v30, v31 dst_sel:DWORD dst_unused:UNUSED_PAD src0_sel:DWORD src1_sel:BYTE_0
	s_waitcnt vmcnt(5)
	v_mul_f32_e32 v38, v114, v92
	s_waitcnt lgkmcnt(11)
	v_mul_f32_e32 v36, v12, v92
	v_fma_f32 v38, v12, v91, -v38
	v_mul_f32_e32 v12, v110, v94
	s_waitcnt lgkmcnt(4)
	v_fma_f32 v95, v39, v93, -v12
	s_waitcnt vmcnt(4)
	v_mul_f32_e32 v12, v103, v97
	v_mul_f32_e32 v136, v39, v94
	;; [unrolled: 1-line block ×3, first 2 shown]
	v_fma_f32 v39, v35, v96, -v12
	v_mul_f32_e32 v12, v28, v99
	v_fmac_f32_e32 v89, v103, v96
	v_fma_f32 v96, v83, v98, -v12
	s_waitcnt vmcnt(3)
	v_mul_f32_e32 v12, v17, v116
	v_mul_f32_e32 v137, v83, v99
	v_fma_f32 v40, v128, v115, -v12
	v_mul_f32_e32 v12, v26, v118
	v_fmac_f32_e32 v36, v114, v91
	v_fmac_f32_e32 v137, v28, v98
	v_mul_f32_e32 v91, v128, v116
	v_mul_f32_e32 v128, v100, v118
	v_fma_f32 v138, v100, v117, -v12
	global_load_dwordx4 v[97:100], v135, s[12:13] offset:592
	s_waitcnt vmcnt(3)
	v_mul_f32_e32 v92, v130, v120
	v_fmac_f32_e32 v92, v1, v119
	v_mul_f32_e32 v1, v1, v120
	v_fmac_f32_e32 v136, v110, v93
	v_fma_f32 v85, v130, v119, -v1
	v_mul_f32_e32 v130, v111, v122
	v_mul_f32_e32 v1, v20, v122
	ds_read2_b32 v[93:94], v104 offset0:98 offset1:223
	ds_read2_b32 v[113:114], v105 offset0:80 offset1:205
	v_fmac_f32_e32 v130, v20, v121
	v_fma_f32 v121, v111, v121, -v1
	s_waitcnt vmcnt(2) lgkmcnt(4)
	v_mul_f32_e32 v20, v131, v124
	v_mul_f32_e32 v1, v24, v124
	v_fmac_f32_e32 v20, v24, v123
	v_fma_f32 v24, v131, v123, -v1
	v_mul_f32_e32 v1, v22, v126
	s_waitcnt lgkmcnt(3)
	v_fma_f32 v42, v133, v125, -v1
	v_mul_f32_e32 v43, v133, v126
	v_fmac_f32_e32 v43, v22, v125
	s_waitcnt vmcnt(1) lgkmcnt(0)
	v_mul_f32_e32 v28, v113, v107
	v_fmac_f32_e32 v28, v14, v106
	v_fmac_f32_e32 v91, v17, v115
	v_fmac_f32_e32 v128, v26, v117
	s_waitcnt vmcnt(0)
	v_mul_f32_e32 v45, v84, v100
	v_mul_f32_e32 v1, v29, v100
	v_fmac_f32_e32 v45, v29, v99
	v_fma_f32 v29, v84, v99, -v1
	v_mul_f32_e32 v1, v18, v98
	v_fma_f32 v22, v93, v97, -v1
	v_mul_f32_e32 v1, v14, v107
	;; [unrolled: 2-line block ×3, first 2 shown]
	v_mul_f32_e32 v1, v27, v109
	v_fmac_f32_e32 v84, v27, v108
	v_fma_f32 v27, v101, v108, -v1
	v_mul_u32_u24_sdwa v1, v67, s0 dst_sel:DWORD dst_unused:UNUSED_PAD src0_sel:WORD_0 src1_sel:DWORD
	v_sub_u16_sdwa v12, v67, v1 dst_sel:DWORD dst_unused:UNUSED_PAD src0_sel:DWORD src1_sel:WORD_1
	v_lshrrev_b16_e32 v12, 1, v12
	v_add_u16_sdwa v1, v12, v1 dst_sel:DWORD dst_unused:UNUSED_PAD src0_sel:DWORD src1_sel:WORD_1
	v_lshrrev_b16_e32 v1, 6, v1
	v_mul_lo_u16_e32 v12, 0x4b, v1
	v_sub_u16_e32 v12, v67, v12
	v_mul_u32_u24_e32 v17, 9, v12
	v_mul_f32_e32 v26, v93, v98
	v_lshlrev_b32_e32 v107, 3, v17
	v_fmac_f32_e32 v26, v18, v97
	global_load_dwordx4 v[97:100], v107, s[12:13] offset:576
	global_load_dwordx4 v[103:106], v135, s[12:13] offset:624
	s_movk_i32 s0, 0x4a
	v_cmp_lt_u32_e64 s[0:1], s0, v65
	v_mul_u32_u24_e32 v1, 0xbb8, v1
	v_lshlrev_b32_e32 v12, 2, v12
	v_add3_u32 v1, 0, v1, v12
	v_add_u32_e32 v12, 0x400, v1
	s_waitcnt vmcnt(1)
	v_mul_f32_e32 v83, v134, v100
	v_mul_f32_e32 v17, v132, v98
	;; [unrolled: 1-line block ×3, first 2 shown]
	v_fmac_f32_e32 v83, v23, v99
	v_mul_f32_e32 v23, v23, v100
	v_fmac_f32_e32 v17, v25, v97
	v_fma_f32 v18, v132, v97, -v18
	v_fma_f32 v35, v134, v99, -v23
	global_load_dwordx4 v[97:100], v107, s[12:13] offset:592
	global_load_dwordx2 v[115:116], v[87:88], off offset:640
	global_load_dwordx2 v[117:118], v135, s[12:13] offset:640
	ds_read2_b32 v[101:102], v102 offset0:62 offset1:187
	s_waitcnt vmcnt(3)
	v_mul_f32_e32 v93, v112, v106
	v_fmac_f32_e32 v93, v21, v105
	v_mul_f32_e32 v21, v21, v106
	v_fma_f32 v88, v112, v105, -v21
	s_waitcnt lgkmcnt(0)
	v_mul_f32_e32 v25, v101, v104
	v_fmac_f32_e32 v25, v6, v103
	v_mul_f32_e32 v6, v6, v104
	ds_read2_b32 v[104:105], v37 offset0:50 offset1:175
	ds_read2_b32 v[119:120], v82 offset0:44 offset1:169
	v_fma_f32 v23, v101, v103, -v6
	global_load_dwordx4 v[108:111], v107, s[12:13] offset:608
	s_waitcnt vmcnt(3)
	v_mul_f32_e32 v21, v94, v98
	v_mul_f32_e32 v6, v19, v98
	v_fmac_f32_e32 v21, v19, v97
	v_fma_f32 v19, v94, v97, -v6
	v_mul_f32_e32 v87, v127, v100
	v_mul_f32_e32 v6, v16, v100
	v_fmac_f32_e32 v87, v16, v99
	v_fma_f32 v16, v127, v99, -v6
	global_load_dwordx4 v[97:100], v107, s[12:13] offset:624
	s_waitcnt vmcnt(3) lgkmcnt(1)
	v_mul_f32_e32 v6, v105, v116
	v_fmac_f32_e32 v6, v3, v115
	v_mul_f32_e32 v3, v3, v116
	v_fma_f32 v37, v105, v115, -v3
	s_waitcnt vmcnt(2) lgkmcnt(0)
	v_mul_f32_e32 v103, v119, v118
	v_mul_f32_e32 v3, v4, v118
	v_fmac_f32_e32 v103, v4, v117
	v_fma_f32 v82, v119, v117, -v3
	global_load_dwordx2 v[3:4], v107, s[12:13] offset:640
	s_waitcnt vmcnt(2)
	v_mul_f32_e32 v107, v114, v109
	v_mul_f32_e32 v113, v129, v111
	v_fmac_f32_e32 v107, v15, v108
	v_mul_f32_e32 v15, v15, v109
	v_fmac_f32_e32 v113, v0, v110
	v_mul_f32_e32 v0, v0, v111
	v_fma_f32 v15, v114, v108, -v15
	v_fma_f32 v111, v129, v110, -v0
	ds_read_b32 v115, v53
	v_sub_f32_e32 v101, v92, v6
	s_waitcnt vmcnt(0) lgkmcnt(0)
	s_barrier
	v_mul_f32_e32 v0, v7, v98
	v_mul_f32_e32 v114, v104, v100
	v_fma_f32 v94, v102, v97, -v0
	v_fmac_f32_e32 v114, v2, v99
	v_mul_f32_e32 v0, v2, v100
	v_add_f32_e32 v2, v137, v128
	v_fma_f32 v112, v104, v99, -v0
	v_fma_f32 v2, -0.5, v2, v41
	v_mul_f32_e32 v109, v102, v98
	v_mul_f32_e32 v110, v120, v4
	;; [unrolled: 1-line block ×3, first 2 shown]
	v_fmac_f32_e32 v110, v5, v3
	v_fma_f32 v108, v120, v3, -v0
	v_sub_f32_e32 v3, v95, v121
	v_mov_b32_e32 v5, v2
	v_fmac_f32_e32 v109, v7, v97
	v_fmac_f32_e32 v5, 0xbf737871, v3
	v_sub_f32_e32 v4, v96, v138
	v_sub_f32_e32 v7, v136, v137
	;; [unrolled: 1-line block ×3, first 2 shown]
	v_fmac_f32_e32 v2, 0x3f737871, v3
	v_fmac_f32_e32 v5, 0xbf167918, v4
	v_add_f32_e32 v7, v7, v97
	v_fmac_f32_e32 v2, 0x3f167918, v4
	v_fmac_f32_e32 v5, 0x3e9e377a, v7
	;; [unrolled: 1-line block ×3, first 2 shown]
	v_add_f32_e32 v7, v136, v130
	v_add_f32_e32 v0, v41, v136
	v_fmac_f32_e32 v41, -0.5, v7
	v_mov_b32_e32 v7, v41
	v_fmac_f32_e32 v7, 0x3f737871, v4
	v_fmac_f32_e32 v41, 0xbf737871, v4
	v_add_f32_e32 v4, v96, v138
	v_sub_f32_e32 v97, v137, v136
	v_sub_f32_e32 v98, v128, v130
	v_fma_f32 v104, -0.5, v4, v115
	v_fmac_f32_e32 v7, 0xbf167918, v3
	v_add_f32_e32 v97, v97, v98
	v_fmac_f32_e32 v41, 0x3f167918, v3
	v_sub_f32_e32 v4, v136, v130
	v_mov_b32_e32 v116, v104
	v_fmac_f32_e32 v7, 0x3e9e377a, v97
	v_fmac_f32_e32 v41, 0x3e9e377a, v97
	;; [unrolled: 1-line block ×3, first 2 shown]
	v_sub_f32_e32 v97, v137, v128
	v_sub_f32_e32 v98, v95, v96
	;; [unrolled: 1-line block ×3, first 2 shown]
	v_fmac_f32_e32 v104, 0xbf737871, v4
	v_fmac_f32_e32 v116, 0x3f167918, v97
	v_add_f32_e32 v98, v98, v99
	v_fmac_f32_e32 v104, 0xbf167918, v97
	v_fmac_f32_e32 v116, 0x3e9e377a, v98
	;; [unrolled: 1-line block ×3, first 2 shown]
	v_add_f32_e32 v98, v95, v121
	v_add_f32_e32 v3, v115, v95
	v_fmac_f32_e32 v115, -0.5, v98
	v_mov_b32_e32 v117, v115
	v_fmac_f32_e32 v117, 0xbf737871, v97
	v_fmac_f32_e32 v115, 0x3f737871, v97
	;; [unrolled: 1-line block ×4, first 2 shown]
	v_add_f32_e32 v4, v36, v89
	v_add_f32_e32 v4, v4, v91
	;; [unrolled: 1-line block ×3, first 2 shown]
	v_sub_f32_e32 v95, v96, v95
	v_sub_f32_e32 v96, v138, v121
	v_add_f32_e32 v4, v4, v92
	v_add_f32_e32 v95, v95, v96
	;; [unrolled: 1-line block ×4, first 2 shown]
	v_fma_f32 v4, -0.5, v4, v36
	v_fmac_f32_e32 v117, 0x3e9e377a, v95
	v_fmac_f32_e32 v115, 0x3e9e377a, v95
	v_sub_f32_e32 v95, v39, v37
	v_mov_b32_e32 v97, v4
	v_fmac_f32_e32 v97, 0xbf737871, v95
	v_sub_f32_e32 v98, v40, v85
	v_sub_f32_e32 v99, v89, v91
	v_sub_f32_e32 v100, v6, v92
	v_fmac_f32_e32 v4, 0x3f737871, v95
	v_fmac_f32_e32 v97, 0xbf167918, v98
	v_add_f32_e32 v99, v99, v100
	v_fmac_f32_e32 v4, 0x3f167918, v98
	v_fmac_f32_e32 v97, 0x3e9e377a, v99
	;; [unrolled: 1-line block ×3, first 2 shown]
	v_add_f32_e32 v99, v89, v6
	v_fmac_f32_e32 v36, -0.5, v99
	v_mov_b32_e32 v99, v36
	v_fmac_f32_e32 v99, 0x3f737871, v98
	v_fmac_f32_e32 v36, 0xbf737871, v98
	;; [unrolled: 1-line block ×4, first 2 shown]
	v_add_f32_e32 v95, v38, v39
	v_add_f32_e32 v95, v95, v40
	;; [unrolled: 1-line block ×5, first 2 shown]
	v_fma_f32 v98, -0.5, v95, v38
	v_sub_f32_e32 v100, v91, v89
	v_sub_f32_e32 v6, v89, v6
	v_mov_b32_e32 v89, v98
	v_fmac_f32_e32 v89, 0x3f737871, v6
	v_sub_f32_e32 v91, v91, v92
	v_sub_f32_e32 v92, v39, v40
	;; [unrolled: 1-line block ×3, first 2 shown]
	v_fmac_f32_e32 v98, 0xbf737871, v6
	v_fmac_f32_e32 v89, 0x3f167918, v91
	v_add_f32_e32 v92, v92, v95
	v_fmac_f32_e32 v98, 0xbf167918, v91
	v_fmac_f32_e32 v89, 0x3e9e377a, v92
	;; [unrolled: 1-line block ×3, first 2 shown]
	v_add_f32_e32 v92, v39, v37
	v_fmac_f32_e32 v38, -0.5, v92
	v_mov_b32_e32 v92, v38
	v_sub_f32_e32 v39, v40, v39
	v_sub_f32_e32 v37, v85, v37
	v_fmac_f32_e32 v38, 0x3f737871, v91
	v_fmac_f32_e32 v92, 0xbf737871, v91
	v_add_f32_e32 v37, v39, v37
	v_fmac_f32_e32 v38, 0xbf167918, v6
	v_mul_f32_e32 v119, 0xbf167918, v98
	v_add_f32_e32 v0, v0, v137
	v_add_f32_e32 v100, v100, v101
	v_fmac_f32_e32 v92, 0x3f167918, v6
	v_fmac_f32_e32 v38, 0x3e9e377a, v37
	v_mul_f32_e32 v6, 0xbf167918, v89
	v_fmac_f32_e32 v119, 0xbf4f1bbd, v4
	v_mul_f32_e32 v89, 0x3f4f1bbd, v89
	v_add_f32_e32 v0, v0, v128
	v_fmac_f32_e32 v36, 0x3e9e377a, v100
	v_fmac_f32_e32 v92, 0x3e9e377a, v37
	v_fmac_f32_e32 v6, 0x3f4f1bbd, v97
	v_mul_f32_e32 v91, 0xbf737871, v38
	v_add_f32_e32 v95, v2, v119
	v_fmac_f32_e32 v89, 0x3f167918, v97
	v_sub_f32_e32 v97, v2, v119
	v_add_f32_e32 v2, v45, v84
	v_add_f32_e32 v0, v0, v130
	;; [unrolled: 1-line block ×3, first 2 shown]
	v_fmac_f32_e32 v99, 0x3e9e377a, v100
	v_mul_f32_e32 v85, 0xbf737871, v92
	v_fmac_f32_e32 v91, 0xbe9e377a, v36
	v_mul_f32_e32 v92, 0x3e9e377a, v92
	v_fma_f32 v2, -0.5, v2, v44
	v_add_f32_e32 v3, v3, v121
	v_add_f32_e32 v105, v0, v96
	;; [unrolled: 1-line block ×3, first 2 shown]
	v_fmac_f32_e32 v85, 0x3e9e377a, v99
	v_add_f32_e32 v102, v41, v91
	v_add_f32_e32 v40, v116, v89
	v_fmac_f32_e32 v92, 0x3f737871, v99
	v_mul_f32_e32 v121, 0xbf4f1bbd, v98
	v_sub_f32_e32 v100, v0, v96
	v_sub_f32_e32 v98, v5, v6
	;; [unrolled: 1-line block ×5, first 2 shown]
	v_mov_b32_e32 v89, v2
	v_add_f32_e32 v101, v7, v85
	v_add_f32_e32 v37, v117, v92
	v_sub_f32_e32 v99, v7, v85
	v_sub_f32_e32 v7, v117, v92
	v_fmac_f32_e32 v89, 0xbf737871, v41
	v_sub_f32_e32 v85, v29, v27
	v_sub_f32_e32 v91, v43, v45
	;; [unrolled: 1-line block ×3, first 2 shown]
	v_fmac_f32_e32 v2, 0x3f737871, v41
	v_fmac_f32_e32 v89, 0xbf167918, v85
	v_add_f32_e32 v91, v91, v92
	v_fmac_f32_e32 v2, 0x3f167918, v85
	v_fmac_f32_e32 v89, 0x3e9e377a, v91
	;; [unrolled: 1-line block ×3, first 2 shown]
	v_add_f32_e32 v91, v43, v93
	v_add_f32_e32 v0, v44, v43
	v_fmac_f32_e32 v44, -0.5, v91
	v_mov_b32_e32 v91, v44
	v_fmac_f32_e32 v91, 0x3f737871, v85
	v_fmac_f32_e32 v44, 0xbf737871, v85
	;; [unrolled: 1-line block ×5, first 2 shown]
	v_add_f32_e32 v41, v34, v42
	v_add_f32_e32 v4, v104, v121
	v_sub_f32_e32 v5, v104, v121
	v_sub_f32_e32 v92, v45, v43
	;; [unrolled: 1-line block ×3, first 2 shown]
	v_add_f32_e32 v41, v41, v29
	v_mul_f32_e32 v120, 0xbe9e377a, v38
	v_add_f32_e32 v92, v92, v104
	v_add_f32_e32 v41, v41, v27
	v_fmac_f32_e32 v120, 0x3f737871, v36
	v_fmac_f32_e32 v91, 0x3e9e377a, v92
	v_fmac_f32_e32 v44, 0x3e9e377a, v92
	v_add_f32_e32 v92, v41, v88
	v_add_f32_e32 v41, v29, v27
	;; [unrolled: 1-line block ×4, first 2 shown]
	v_sub_f32_e32 v36, v3, v118
	v_sub_f32_e32 v3, v115, v120
	v_fma_f32 v115, -0.5, v41, v34
	v_add_f32_e32 v0, v0, v45
	v_sub_f32_e32 v41, v43, v93
	v_mov_b32_e32 v43, v115
	v_add_f32_e32 v0, v0, v84
	v_fmac_f32_e32 v43, 0x3f737871, v41
	v_sub_f32_e32 v45, v45, v84
	v_sub_f32_e32 v84, v42, v29
	;; [unrolled: 1-line block ×3, first 2 shown]
	v_fmac_f32_e32 v115, 0xbf737871, v41
	v_fmac_f32_e32 v43, 0x3f167918, v45
	v_add_f32_e32 v84, v84, v85
	v_fmac_f32_e32 v115, 0xbf167918, v45
	v_fmac_f32_e32 v43, 0x3e9e377a, v84
	;; [unrolled: 1-line block ×3, first 2 shown]
	v_add_f32_e32 v84, v42, v88
	v_fmac_f32_e32 v34, -0.5, v84
	v_add_f32_e32 v0, v0, v93
	v_mov_b32_e32 v93, v34
	v_sub_f32_e32 v29, v29, v42
	v_sub_f32_e32 v27, v27, v88
	v_fmac_f32_e32 v93, 0xbf737871, v45
	v_add_f32_e32 v27, v29, v27
	v_fmac_f32_e32 v34, 0x3f737871, v45
	v_add_f32_e32 v29, v28, v25
	v_fmac_f32_e32 v93, 0x3f167918, v41
	v_fmac_f32_e32 v34, 0xbf167918, v41
	v_fma_f32 v41, -0.5, v29, v20
	v_sub_f32_e32 v29, v22, v82
	v_mov_b32_e32 v42, v41
	v_fmac_f32_e32 v42, 0xbf737871, v29
	v_sub_f32_e32 v45, v14, v23
	v_sub_f32_e32 v84, v26, v28
	;; [unrolled: 1-line block ×3, first 2 shown]
	v_fmac_f32_e32 v41, 0x3f737871, v29
	v_fmac_f32_e32 v42, 0xbf167918, v45
	v_add_f32_e32 v84, v84, v85
	v_fmac_f32_e32 v41, 0x3f167918, v45
	v_fmac_f32_e32 v42, 0x3e9e377a, v84
	;; [unrolled: 1-line block ×3, first 2 shown]
	v_add_f32_e32 v84, v26, v103
	v_fmac_f32_e32 v93, 0x3e9e377a, v27
	v_fmac_f32_e32 v34, 0x3e9e377a, v27
	v_add_f32_e32 v27, v20, v26
	v_fmac_f32_e32 v20, -0.5, v84
	v_mov_b32_e32 v88, v20
	v_fmac_f32_e32 v88, 0x3f737871, v45
	v_fmac_f32_e32 v20, 0xbf737871, v45
	;; [unrolled: 1-line block ×4, first 2 shown]
	v_add_f32_e32 v29, v24, v22
	v_add_f32_e32 v29, v29, v14
	;; [unrolled: 1-line block ×5, first 2 shown]
	v_fma_f32 v117, -0.5, v29, v24
	v_add_f32_e32 v27, v27, v28
	v_sub_f32_e32 v84, v28, v26
	v_sub_f32_e32 v26, v26, v103
	v_mov_b32_e32 v45, v117
	v_add_f32_e32 v27, v27, v25
	v_sub_f32_e32 v85, v25, v103
	v_fmac_f32_e32 v45, 0x3f737871, v26
	v_sub_f32_e32 v25, v28, v25
	v_sub_f32_e32 v28, v22, v14
	;; [unrolled: 1-line block ×3, first 2 shown]
	v_fmac_f32_e32 v117, 0xbf737871, v26
	v_fmac_f32_e32 v45, 0x3f167918, v25
	v_add_f32_e32 v28, v28, v29
	v_fmac_f32_e32 v117, 0xbf167918, v25
	v_fmac_f32_e32 v45, 0x3e9e377a, v28
	;; [unrolled: 1-line block ×3, first 2 shown]
	v_add_f32_e32 v28, v22, v82
	v_fmac_f32_e32 v24, -0.5, v28
	v_mov_b32_e32 v118, v24
	v_fmac_f32_e32 v118, 0xbf737871, v25
	v_sub_f32_e32 v14, v14, v22
	v_sub_f32_e32 v22, v23, v82
	v_fmac_f32_e32 v24, 0x3f737871, v25
	v_fmac_f32_e32 v118, 0x3f167918, v26
	v_add_f32_e32 v14, v14, v22
	v_fmac_f32_e32 v24, 0xbf167918, v26
	v_fmac_f32_e32 v118, 0x3e9e377a, v14
	;; [unrolled: 1-line block ×3, first 2 shown]
	v_mul_f32_e32 v14, 0xbf167918, v45
	v_fmac_f32_e32 v14, 0x3f4f1bbd, v42
	v_add_f32_e32 v84, v84, v85
	v_add_f32_e32 v104, v89, v14
	v_sub_f32_e32 v25, v89, v14
	v_add_f32_e32 v14, v86, v83
	v_fmac_f32_e32 v88, 0x3e9e377a, v84
	v_mul_f32_e32 v23, 0xbf737871, v118
	v_mul_f32_e32 v118, 0x3e9e377a, v118
	v_add_f32_e32 v14, v14, v87
	v_fmac_f32_e32 v20, 0x3e9e377a, v84
	v_fmac_f32_e32 v23, 0x3e9e377a, v88
	v_mul_f32_e32 v119, 0xbf737871, v24
	v_fmac_f32_e32 v118, 0x3f737871, v88
	v_mul_f32_e32 v88, 0xbe9e377a, v24
	v_add_f32_e32 v14, v14, v113
	v_fmac_f32_e32 v119, 0xbe9e377a, v20
	v_mul_f32_e32 v120, 0xbf167918, v117
	v_fmac_f32_e32 v88, 0x3f737871, v20
	v_mul_f32_e32 v20, 0xbf4f1bbd, v117
	v_add_f32_e32 v89, v14, v114
	v_add_f32_e32 v14, v87, v113
	;; [unrolled: 1-line block ×3, first 2 shown]
	v_fmac_f32_e32 v120, 0xbf4f1bbd, v41
	v_fmac_f32_e32 v20, 0x3f167918, v41
	v_sub_f32_e32 v26, v91, v23
	v_fma_f32 v91, -0.5, v14, v86
	v_add_f32_e32 v27, v27, v103
	v_add_f32_e32 v22, v2, v120
	;; [unrolled: 1-line block ×3, first 2 shown]
	v_sub_f32_e32 v24, v2, v120
	v_sub_f32_e32 v2, v115, v20
	;; [unrolled: 1-line block ×3, first 2 shown]
	v_mov_b32_e32 v115, v91
	v_add_f32_e32 v103, v0, v27
	v_add_f32_e32 v82, v34, v88
	v_sub_f32_e32 v27, v0, v27
	v_sub_f32_e32 v0, v34, v88
	v_fmac_f32_e32 v115, 0xbf737871, v14
	v_sub_f32_e32 v20, v16, v111
	v_sub_f32_e32 v34, v83, v87
	;; [unrolled: 1-line block ×3, first 2 shown]
	v_fmac_f32_e32 v91, 0x3f737871, v14
	v_fmac_f32_e32 v115, 0xbf167918, v20
	v_add_f32_e32 v34, v34, v88
	v_fmac_f32_e32 v91, 0x3f167918, v20
	v_fmac_f32_e32 v115, 0x3e9e377a, v34
	;; [unrolled: 1-line block ×3, first 2 shown]
	v_add_f32_e32 v34, v83, v114
	v_fmac_f32_e32 v86, -0.5, v34
	v_add_f32_e32 v29, v44, v119
	v_add_f32_e32 v84, v92, v116
	v_sub_f32_e32 v23, v44, v119
	v_sub_f32_e32 v44, v92, v116
	v_mov_b32_e32 v116, v86
	v_fmac_f32_e32 v116, 0x3f737871, v20
	v_fmac_f32_e32 v86, 0xbf737871, v20
	;; [unrolled: 1-line block ×4, first 2 shown]
	v_add_f32_e32 v14, v90, v35
	v_add_f32_e32 v14, v14, v16
	v_mul_f32_e32 v121, 0x3f4f1bbd, v45
	v_add_f32_e32 v14, v14, v111
	v_fmac_f32_e32 v121, 0x3f167918, v42
	v_add_f32_e32 v117, v14, v112
	v_add_f32_e32 v14, v16, v111
	;; [unrolled: 1-line block ×4, first 2 shown]
	v_sub_f32_e32 v42, v43, v121
	v_sub_f32_e32 v43, v93, v118
	;; [unrolled: 1-line block ×4, first 2 shown]
	v_fma_f32 v118, -0.5, v14, v90
	v_add_f32_e32 v34, v34, v88
	v_sub_f32_e32 v14, v83, v114
	v_mov_b32_e32 v114, v118
	v_fmac_f32_e32 v116, 0x3e9e377a, v34
	v_fmac_f32_e32 v86, 0x3e9e377a, v34
	;; [unrolled: 1-line block ×3, first 2 shown]
	v_sub_f32_e32 v20, v87, v113
	v_sub_f32_e32 v34, v35, v16
	;; [unrolled: 1-line block ×3, first 2 shown]
	v_fmac_f32_e32 v118, 0xbf737871, v14
	v_fmac_f32_e32 v114, 0x3f167918, v20
	v_add_f32_e32 v34, v34, v83
	v_fmac_f32_e32 v118, 0xbf167918, v20
	v_fmac_f32_e32 v114, 0x3e9e377a, v34
	;; [unrolled: 1-line block ×3, first 2 shown]
	v_add_f32_e32 v34, v35, v112
	v_fmac_f32_e32 v90, -0.5, v34
	v_mov_b32_e32 v113, v90
	v_fmac_f32_e32 v113, 0xbf737871, v20
	v_fmac_f32_e32 v90, 0x3f737871, v20
	;; [unrolled: 1-line block ×4, first 2 shown]
	v_add_f32_e32 v14, v17, v21
	v_sub_f32_e32 v16, v16, v35
	v_sub_f32_e32 v34, v111, v112
	v_add_f32_e32 v14, v14, v107
	v_add_f32_e32 v16, v16, v34
	;; [unrolled: 1-line block ×3, first 2 shown]
	v_fmac_f32_e32 v113, 0x3e9e377a, v16
	v_fmac_f32_e32 v90, 0x3e9e377a, v16
	v_add_f32_e32 v16, v14, v110
	v_add_f32_e32 v14, v107, v109
	v_fma_f32 v83, -0.5, v14, v17
	v_sub_f32_e32 v14, v19, v108
	v_mov_b32_e32 v87, v83
	v_fmac_f32_e32 v87, 0xbf737871, v14
	v_sub_f32_e32 v20, v15, v94
	v_sub_f32_e32 v34, v21, v107
	;; [unrolled: 1-line block ×3, first 2 shown]
	v_fmac_f32_e32 v83, 0x3f737871, v14
	v_fmac_f32_e32 v87, 0xbf167918, v20
	v_add_f32_e32 v34, v34, v35
	v_fmac_f32_e32 v83, 0x3f167918, v20
	v_fmac_f32_e32 v87, 0x3e9e377a, v34
	;; [unrolled: 1-line block ×3, first 2 shown]
	v_add_f32_e32 v34, v21, v110
	v_fmac_f32_e32 v17, -0.5, v34
	v_mov_b32_e32 v88, v17
	v_fmac_f32_e32 v88, 0x3f737871, v20
	v_fmac_f32_e32 v17, 0xbf737871, v20
	;; [unrolled: 1-line block ×4, first 2 shown]
	v_add_f32_e32 v14, v18, v19
	v_add_f32_e32 v14, v14, v15
	;; [unrolled: 1-line block ×5, first 2 shown]
	v_sub_f32_e32 v34, v107, v21
	v_sub_f32_e32 v35, v109, v110
	v_fma_f32 v112, -0.5, v14, v18
	v_add_f32_e32 v34, v34, v35
	v_sub_f32_e32 v14, v21, v110
	v_mov_b32_e32 v92, v112
	v_fmac_f32_e32 v88, 0x3e9e377a, v34
	v_fmac_f32_e32 v17, 0x3e9e377a, v34
	;; [unrolled: 1-line block ×3, first 2 shown]
	v_sub_f32_e32 v20, v107, v109
	v_sub_f32_e32 v21, v19, v15
	;; [unrolled: 1-line block ×3, first 2 shown]
	v_fmac_f32_e32 v112, 0xbf737871, v14
	v_fmac_f32_e32 v92, 0x3f167918, v20
	v_add_f32_e32 v21, v21, v34
	v_fmac_f32_e32 v112, 0xbf167918, v20
	v_fmac_f32_e32 v92, 0x3e9e377a, v21
	;; [unrolled: 1-line block ×3, first 2 shown]
	v_add_f32_e32 v21, v19, v108
	v_fmac_f32_e32 v18, -0.5, v21
	v_mov_b32_e32 v107, v18
	v_fmac_f32_e32 v107, 0xbf737871, v20
	v_sub_f32_e32 v15, v15, v19
	v_sub_f32_e32 v19, v94, v108
	v_fmac_f32_e32 v107, 0x3f167918, v14
	v_add_f32_e32 v15, v15, v19
	v_fmac_f32_e32 v107, 0x3e9e377a, v15
	v_mul_f32_e32 v108, 0xbf737871, v107
	v_mul_f32_e32 v107, 0x3e9e377a, v107
	v_fmac_f32_e32 v107, 0x3f737871, v88
	v_add_f32_e32 v34, v89, v16
	v_fmac_f32_e32 v108, 0x3e9e377a, v88
	v_add_f32_e32 v88, v113, v107
	v_sub_f32_e32 v19, v89, v16
	v_sub_f32_e32 v89, v113, v107
	v_mov_b32_e32 v107, 0xbb8
	v_cndmask_b32_e64 v107, 0, v107, s[0:1]
	v_fmac_f32_e32 v18, 0x3f737871, v20
	v_add3_u32 v107, 0, v107, v33
	v_fmac_f32_e32 v18, 0xbf167918, v14
	ds_write2_b32 v107, v105, v106 offset1:75
	ds_write2_b32 v107, v101, v102 offset0:150 offset1:225
	v_add_u32_e32 v101, 0x400, v107
	v_fmac_f32_e32 v18, 0x3e9e377a, v15
	ds_write2_b32 v101, v95, v100 offset0:44 offset1:119
	v_add_u32_e32 v100, 0x600, v107
	v_mul_f32_e32 v15, 0xbf167918, v92
	v_mul_f32_e32 v109, 0xbf737871, v18
	;; [unrolled: 1-line block ×3, first 2 shown]
	ds_write2_b32 v100, v98, v99 offset0:66 offset1:141
	v_add_u32_e32 v98, 0x800, v107
	v_fmac_f32_e32 v15, 0x3f4f1bbd, v87
	v_fmac_f32_e32 v109, 0xbe9e377a, v17
	;; [unrolled: 1-line block ×3, first 2 shown]
	v_mul_f32_e32 v120, 0xbe9e377a, v18
	ds_write2_b32 v98, v96, v97 offset0:88 offset1:163
	v_add3_u32 v97, 0, v32, v30
	v_add_f32_e32 v35, v115, v15
	v_add_f32_e32 v20, v116, v108
	;; [unrolled: 1-line block ×4, first 2 shown]
	v_fmac_f32_e32 v120, 0x3f737871, v17
	v_sub_f32_e32 v17, v115, v15
	v_sub_f32_e32 v18, v116, v108
	;; [unrolled: 1-line block ×4, first 2 shown]
	ds_write2_b32 v97, v103, v104 offset1:75
	ds_write2_b32 v97, v28, v29 offset0:150 offset1:225
	v_add_u32_e32 v102, 0x400, v97
	v_add_u32_e32 v103, 0x600, v97
	;; [unrolled: 1-line block ×5, first 2 shown]
	ds_write2_b32 v102, v22, v27 offset0:44 offset1:119
	ds_write2_b32 v103, v25, v26 offset0:66 offset1:141
	;; [unrolled: 1-line block ×3, first 2 shown]
	ds_write2_b32 v1, v34, v35 offset1:75
	ds_write2_b32 v1, v20, v21 offset0:150 offset1:225
	ds_write2_b32 v12, v14, v19 offset0:44 offset1:119
	;; [unrolled: 1-line block ×4, first 2 shown]
	s_waitcnt lgkmcnt(0)
	s_barrier
	ds_read_b32 v95, v53
	ds_read2_b32 v[18:19], v55 offset0:95 offset1:220
	ds_read2_b32 v[16:17], v61 offset0:77 offset1:202
	;; [unrolled: 1-line block ×11, first 2 shown]
	ds_read_b32 v77, v77
	ds_read_b32 v78, v78
	ds_read_b32 v79, v79
	ds_read_b32 v80, v80
	ds_read_b32 v81, v81
	ds_read_b32 v76, v76
	ds_read_b32 v96, v53 offset:14500
	v_mul_f32_e32 v119, 0x3f4f1bbd, v92
	v_mul_f32_e32 v112, 0xbf4f1bbd, v112
	v_fmac_f32_e32 v119, 0x3f167918, v87
	v_fmac_f32_e32 v112, 0x3f167918, v83
	v_add_f32_e32 v93, v117, v111
	v_add_f32_e32 v94, v114, v119
	;; [unrolled: 1-line block ×4, first 2 shown]
	v_sub_f32_e32 v86, v117, v111
	v_sub_f32_e32 v87, v114, v119
	;; [unrolled: 1-line block ×4, first 2 shown]
	s_waitcnt lgkmcnt(0)
	s_barrier
	ds_write2_b32 v107, v39, v40 offset1:75
	ds_write2_b32 v107, v37, v38 offset0:150 offset1:225
	ds_write2_b32 v101, v4, v36 offset0:44 offset1:119
	ds_write2_b32 v100, v6, v7 offset0:66 offset1:141
	ds_write2_b32 v98, v3, v5 offset0:88 offset1:163
	ds_write2_b32 v97, v84, v85 offset1:75
	ds_write2_b32 v97, v45, v82 offset0:150 offset1:225
	ds_write2_b32 v102, v41, v44 offset0:44 offset1:119
	ds_write2_b32 v103, v42, v43 offset0:66 offset1:141
	ds_write2_b32 v99, v0, v2 offset0:88 offset1:163
	;; [unrolled: 5-line block ×3, first 2 shown]
	s_waitcnt lgkmcnt(0)
	s_barrier
	s_and_saveexec_b64 s[0:1], vcc
	s_cbranch_execz .LBB0_15
; %bb.14:
	v_lshlrev_b32_e32 v12, 2, v70
	v_lshlrev_b64 v[0:1], 3, v[12:13]
	v_mov_b32_e32 v70, s13
	v_add_co_u32_e32 v4, vcc, s12, v0
	v_addc_co_u32_e32 v5, vcc, v70, v1, vcc
	v_add_co_u32_e32 v0, vcc, s6, v4
	s_movk_i32 s0, 0x1758
	v_addc_co_u32_e32 v1, vcc, 0, v5, vcc
	v_add_co_u32_e32 v4, vcc, s0, v4
	v_addc_co_u32_e32 v5, vcc, 0, v5, vcc
	global_load_dwordx4 v[0:3], v[0:1], off offset:1880
	v_sub_u32_e32 v12, 0, v75
	global_load_dwordx4 v[4:7], v[4:5], off offset:16
	v_mul_lo_u32 v43, s5, v10
	v_mul_lo_u32 v45, s4, v11
	v_mad_u64_u32 v[10:11], s[4:5], s4, v10, 0
	v_add_u32_e32 v51, v51, v12
	v_lshlrev_b32_e32 v12, 2, v69
	ds_read2_b32 v[38:39], v61 offset0:77 offset1:202
	ds_read2_b32 v[40:41], v55 offset0:95 offset1:220
	;; [unrolled: 1-line block ×3, first 2 shown]
	ds_read_b32 v42, v53 offset:14500
	ds_read_b32 v94, v53
	v_lshlrev_b64 v[60:61], 3, v[12:13]
	v_add3_u32 v11, v11, v45, v43
	v_add_co_u32_e32 v12, vcc, s12, v60
	v_addc_co_u32_e32 v43, vcc, v70, v61, vcc
	v_add_co_u32_e32 v60, vcc, s0, v12
	v_addc_co_u32_e32 v61, vcc, 0, v43, vcc
	v_sub_u32_e32 v44, 0, v74
	v_add_co_u32_e32 v74, vcc, s6, v12
	v_addc_co_u32_e32 v75, vcc, 0, v43, vcc
	ds_read_b32 v51, v51
	global_load_dwordx4 v[82:85], v[74:75], off offset:1880
	global_load_dwordx4 v[86:89], v[60:61], off offset:16
	ds_read2_b32 v[74:75], v47 offset0:101 offset1:226
	v_sub_u32_e32 v73, 0, v73
	v_sub_u32_e32 v72, 0, v72
	;; [unrolled: 1-line block ×4, first 2 shown]
	v_lshlrev_b64 v[10:11], 3, v[10:11]
	v_lshlrev_b64 v[8:9], 3, v[8:9]
	s_movk_i32 s1, 0xea6
	s_waitcnt vmcnt(3)
	v_mul_f32_e32 v12, v16, v3
	v_mul_f32_e32 v43, v18, v1
	s_waitcnt vmcnt(2)
	v_mul_f32_e32 v53, v96, v7
	s_waitcnt lgkmcnt(6)
	v_mul_f32_e32 v55, v38, v3
	s_waitcnt lgkmcnt(5)
	v_mul_f32_e32 v60, v40, v1
	v_fma_f32 v12, v2, v38, -v12
	v_fma_f32 v38, v0, v40, -v43
	s_waitcnt lgkmcnt(3)
	v_fma_f32 v40, v6, v42, -v53
	v_mul_f32_e32 v69, v36, v5
	v_add_f32_e32 v3, v38, v40
	v_mul_f32_e32 v45, v14, v5
	v_mul_f32_e32 v90, v42, v7
	v_fmac_f32_e32 v55, v16, v2
	v_fmac_f32_e32 v69, v14, v4
	s_waitcnt lgkmcnt(1)
	v_fma_f32 v5, -0.5, v3, v51
	v_fma_f32 v36, v4, v36, -v45
	v_fmac_f32_e32 v60, v18, v0
	v_fmac_f32_e32 v90, v96, v6
	v_sub_f32_e32 v2, v55, v69
	v_mov_b32_e32 v3, v5
	v_sub_f32_e32 v0, v12, v38
	v_sub_f32_e32 v1, v36, v40
	;; [unrolled: 1-line block ×3, first 2 shown]
	v_fmac_f32_e32 v5, 0xbf737871, v2
	v_fmac_f32_e32 v3, 0x3f737871, v2
	v_sub_f32_e32 v6, v38, v12
	v_sub_f32_e32 v7, v40, v36
	v_add_f32_e32 v14, v12, v36
	v_add_f32_e32 v0, v0, v1
	v_fmac_f32_e32 v5, 0x3f167918, v4
	v_fmac_f32_e32 v3, 0xbf167918, v4
	v_add_f32_e32 v6, v6, v7
	v_fma_f32 v7, -0.5, v14, v51
	v_fmac_f32_e32 v5, 0x3e9e377a, v0
	v_fmac_f32_e32 v3, 0x3e9e377a, v0
	v_add_f32_e32 v0, v38, v51
	v_mov_b32_e32 v1, v7
	v_add_f32_e32 v0, v12, v0
	v_fmac_f32_e32 v7, 0x3f737871, v4
	v_fmac_f32_e32 v1, 0xbf737871, v4
	v_add_f32_e32 v0, v36, v0
	v_fmac_f32_e32 v7, 0x3f167918, v2
	v_fmac_f32_e32 v1, 0xbf167918, v2
	v_add_f32_e32 v43, v40, v0
	v_sub_f32_e32 v0, v55, v60
	v_sub_f32_e32 v2, v69, v90
	v_add_f32_e32 v0, v0, v2
	v_add_f32_e32 v2, v60, v90
	v_fma_f32 v4, -0.5, v2, v81
	v_sub_f32_e32 v12, v12, v36
	v_mov_b32_e32 v2, v4
	v_sub_f32_e32 v14, v38, v40
	v_fmac_f32_e32 v2, 0xbf737871, v12
	v_fmac_f32_e32 v4, 0x3f737871, v12
	;; [unrolled: 1-line block ×8, first 2 shown]
	v_sub_f32_e32 v0, v60, v55
	v_sub_f32_e32 v6, v90, v69
	v_add_f32_e32 v16, v0, v6
	v_add_f32_e32 v0, v55, v69
	v_fma_f32 v6, -0.5, v0, v81
	v_mov_b32_e32 v0, v6
	v_fmac_f32_e32 v0, 0x3f737871, v14
	v_fmac_f32_e32 v6, 0xbf737871, v14
	;; [unrolled: 1-line block ×4, first 2 shown]
	v_add_f32_e32 v12, v81, v60
	ds_read2_b32 v[60:61], v50 offset0:83 offset1:208
	v_add_f32_e32 v12, v55, v12
	v_add_f32_e32 v12, v12, v69
	;; [unrolled: 1-line block ×3, first 2 shown]
	s_waitcnt vmcnt(1)
	v_mul_f32_e32 v12, v35, v85
	s_waitcnt lgkmcnt(0)
	v_fma_f32 v14, v84, v61, -v12
	v_mul_f32_e32 v12, v31, v83
	v_fmac_f32_e32 v0, 0x3e9e377a, v16
	v_fmac_f32_e32 v6, 0x3e9e377a, v16
	v_fma_f32 v16, v82, v75, -v12
	v_lshlrev_b32_e32 v12, 2, v68
	ds_read2_b32 v[100:101], v48 offset0:65 offset1:190
	ds_read2_b32 v[102:103], v49 offset0:47 offset1:172
	v_lshlrev_b64 v[47:48], 3, v[12:13]
	v_mul_f32_e32 v40, v61, v85
	v_add_co_u32_e32 v12, vcc, s12, v47
	v_addc_co_u32_e32 v18, vcc, v70, v48, vcc
	v_add_co_u32_e32 v47, vcc, s6, v12
	v_addc_co_u32_e32 v48, vcc, 0, v18, vcc
	global_load_dwordx4 v[90:93], v[47:48], off offset:1880
	v_add_co_u32_e32 v47, vcc, s0, v12
	v_fmac_f32_e32 v40, v35, v84
	v_add_u32_e32 v35, v46, v44
	v_addc_co_u32_e32 v48, vcc, 0, v18, vcc
	ds_read_b32 v35, v35
	global_load_dwordx4 v[96:99], v[47:48], off offset:16
	s_waitcnt vmcnt(2)
	v_mul_f32_e32 v18, v33, v87
	v_mul_f32_e32 v36, v29, v89
	s_waitcnt lgkmcnt(2)
	v_fma_f32 v18, v86, v101, -v18
	s_waitcnt lgkmcnt(1)
	v_fma_f32 v38, v88, v103, -v36
	v_sub_f32_e32 v12, v14, v16
	v_sub_f32_e32 v36, v18, v38
	v_add_f32_e32 v12, v12, v36
	v_mul_f32_e32 v50, v101, v87
	v_add_f32_e32 v36, v16, v38
	v_mul_f32_e32 v53, v75, v83
	v_fmac_f32_e32 v50, v33, v86
	s_waitcnt lgkmcnt(0)
	v_fma_f32 v47, -0.5, v36, v35
	v_fmac_f32_e32 v53, v31, v82
	v_mul_f32_e32 v31, v103, v89
	v_sub_f32_e32 v33, v40, v50
	v_mov_b32_e32 v36, v47
	v_fmac_f32_e32 v31, v29, v88
	v_fmac_f32_e32 v36, 0x3f737871, v33
	v_sub_f32_e32 v29, v53, v31
	v_fmac_f32_e32 v47, 0xbf737871, v33
	v_fmac_f32_e32 v36, 0xbf167918, v29
	;; [unrolled: 1-line block ×5, first 2 shown]
	v_sub_f32_e32 v12, v16, v14
	v_sub_f32_e32 v44, v38, v18
	v_add_f32_e32 v12, v12, v44
	v_add_f32_e32 v44, v14, v18
	v_fma_f32 v49, -0.5, v44, v35
	v_mov_b32_e32 v45, v49
	v_fmac_f32_e32 v45, 0xbf737871, v29
	v_fmac_f32_e32 v49, 0x3f737871, v29
	;; [unrolled: 1-line block ×6, first 2 shown]
	v_add_f32_e32 v12, v16, v35
	v_add_f32_e32 v12, v14, v12
	;; [unrolled: 1-line block ×4, first 2 shown]
	v_sub_f32_e32 v12, v40, v53
	v_sub_f32_e32 v29, v50, v31
	v_add_f32_e32 v12, v12, v29
	v_add_f32_e32 v29, v53, v31
	v_fma_f32 v46, -0.5, v29, v80
	v_sub_f32_e32 v14, v14, v18
	v_mov_b32_e32 v35, v46
	v_sub_f32_e32 v16, v16, v38
	v_fmac_f32_e32 v35, 0xbf737871, v14
	v_fmac_f32_e32 v46, 0x3f737871, v14
	;; [unrolled: 1-line block ×6, first 2 shown]
	v_sub_f32_e32 v12, v53, v40
	v_sub_f32_e32 v18, v31, v50
	v_add_f32_e32 v12, v12, v18
	v_add_f32_e32 v18, v40, v50
	v_fma_f32 v48, -0.5, v18, v80
	v_mov_b32_e32 v44, v48
	v_fmac_f32_e32 v44, 0x3f737871, v16
	v_fmac_f32_e32 v48, 0xbf737871, v16
	v_fmac_f32_e32 v44, 0x3f167918, v14
	v_fmac_f32_e32 v48, 0xbf167918, v14
	v_fmac_f32_e32 v44, 0x3e9e377a, v12
	v_fmac_f32_e32 v48, 0x3e9e377a, v12
	v_add_f32_e32 v12, v80, v53
	v_add_f32_e32 v12, v40, v12
	;; [unrolled: 1-line block ×4, first 2 shown]
	s_waitcnt vmcnt(1)
	v_mul_f32_e32 v12, v34, v93
	v_fma_f32 v14, v92, v60, -v12
	v_mul_f32_e32 v12, v30, v91
	v_fma_f32 v16, v90, v74, -v12
	v_lshlrev_b32_e32 v12, 2, v67
	v_lshlrev_b64 v[67:68], 3, v[12:13]
	v_sub_f32_e32 v18, v14, v16
	v_add_co_u32_e32 v12, vcc, s12, v67
	v_addc_co_u32_e32 v38, vcc, v70, v68, vcc
	v_add_co_u32_e32 v67, vcc, s6, v12
	v_addc_co_u32_e32 v68, vcc, 0, v38, vcc
	global_load_dwordx4 v[80:83], v[67:68], off offset:1880
	s_waitcnt vmcnt(1)
	v_mul_f32_e32 v29, v32, v97
	v_fma_f32 v40, v96, v100, -v29
	v_mul_f32_e32 v29, v28, v99
	v_fma_f32 v61, v98, v102, -v29
	v_sub_f32_e32 v29, v40, v61
	v_add_f32_e32 v18, v18, v29
	v_mul_f32_e32 v60, v60, v93
	v_add_u32_e32 v29, v52, v73
	v_fmac_f32_e32 v60, v34, v92
	ds_read_b32 v34, v29
	v_add_f32_e32 v29, v16, v61
	v_mul_f32_e32 v68, v74, v91
	v_fmac_f32_e32 v68, v30, v90
	v_mul_f32_e32 v67, v100, v97
	s_waitcnt lgkmcnt(0)
	v_fma_f32 v33, -0.5, v29, v34
	v_add_co_u32_e32 v29, vcc, s0, v12
	v_addc_co_u32_e32 v30, vcc, 0, v38, vcc
	global_load_dwordx4 v[84:87], v[29:30], off offset:16
	v_fmac_f32_e32 v67, v32, v96
	v_mul_f32_e32 v12, v102, v99
	v_sub_f32_e32 v32, v60, v67
	v_mov_b32_e32 v31, v33
	v_fmac_f32_e32 v12, v28, v98
	v_fmac_f32_e32 v31, 0x3f737871, v32
	v_sub_f32_e32 v28, v68, v12
	v_fmac_f32_e32 v33, 0xbf737871, v32
	v_fmac_f32_e32 v31, 0xbf167918, v28
	;; [unrolled: 1-line block ×5, first 2 shown]
	v_sub_f32_e32 v18, v16, v14
	v_sub_f32_e32 v29, v61, v40
	v_add_f32_e32 v18, v18, v29
	v_add_f32_e32 v29, v14, v40
	v_fma_f32 v53, -0.5, v29, v34
	v_mov_b32_e32 v29, v53
	v_fmac_f32_e32 v29, 0xbf737871, v28
	v_fmac_f32_e32 v53, 0x3f737871, v28
	;; [unrolled: 1-line block ×6, first 2 shown]
	v_add_f32_e32 v18, v16, v34
	v_add_f32_e32 v18, v14, v18
	v_add_f32_e32 v18, v40, v18
	v_add_f32_e32 v55, v61, v18
	v_sub_f32_e32 v18, v60, v68
	v_sub_f32_e32 v28, v67, v12
	v_add_f32_e32 v18, v18, v28
	v_add_f32_e32 v28, v68, v12
	v_fma_f32 v32, -0.5, v28, v79
	v_sub_f32_e32 v14, v14, v40
	v_mov_b32_e32 v30, v32
	v_sub_f32_e32 v16, v16, v61
	v_fmac_f32_e32 v30, 0xbf737871, v14
	v_fmac_f32_e32 v32, 0x3f737871, v14
	;; [unrolled: 1-line block ×6, first 2 shown]
	v_sub_f32_e32 v18, v68, v60
	v_sub_f32_e32 v28, v12, v67
	v_add_f32_e32 v18, v18, v28
	v_add_f32_e32 v28, v60, v67
	v_fma_f32 v52, -0.5, v28, v79
	v_mov_b32_e32 v28, v52
	v_fmac_f32_e32 v28, 0x3f737871, v16
	v_fmac_f32_e32 v52, 0xbf737871, v16
	ds_read2_b32 v[92:93], v59 offset0:89 offset1:214
	v_fmac_f32_e32 v28, 0x3f167918, v14
	v_fmac_f32_e32 v52, 0xbf167918, v14
	v_add_f32_e32 v14, v79, v68
	ds_read2_b32 v[96:97], v54 offset0:107 offset1:232
	v_add_f32_e32 v14, v60, v14
	v_add_f32_e32 v14, v14, v67
	;; [unrolled: 1-line block ×3, first 2 shown]
	ds_read2_b32 v[98:99], v57 offset0:71 offset1:196
	ds_read2_b32 v[100:101], v58 offset0:53 offset1:178
	s_waitcnt vmcnt(1)
	v_mul_f32_e32 v12, v27, v83
	s_waitcnt lgkmcnt(3)
	v_fma_f32 v14, v82, v93, -v12
	v_mul_f32_e32 v12, v21, v81
	s_waitcnt lgkmcnt(2)
	v_fma_f32 v16, v80, v97, -v12
	v_lshlrev_b32_e32 v12, 2, v66
	v_lshlrev_b64 v[57:58], 3, v[12:13]
	v_fmac_f32_e32 v28, 0x3e9e377a, v18
	v_add_co_u32_e32 v12, vcc, s12, v57
	v_fmac_f32_e32 v52, 0x3e9e377a, v18
	v_addc_co_u32_e32 v18, vcc, v70, v58, vcc
	v_add_co_u32_e32 v57, vcc, s6, v12
	v_addc_co_u32_e32 v58, vcc, 0, v18, vcc
	global_load_dwordx4 v[66:69], v[57:58], off offset:1880
	v_add_co_u32_e32 v57, vcc, s0, v12
	v_addc_co_u32_e32 v58, vcc, 0, v18, vcc
	s_waitcnt vmcnt(1)
	v_mul_f32_e32 v18, v25, v85
	v_mul_f32_e32 v34, v23, v87
	s_waitcnt lgkmcnt(1)
	v_fma_f32 v18, v84, v99, -v18
	s_waitcnt lgkmcnt(0)
	v_fma_f32 v34, v86, v101, -v34
	v_sub_f32_e32 v12, v14, v16
	v_sub_f32_e32 v38, v18, v34
	v_add_f32_e32 v12, v12, v38
	v_mul_f32_e32 v38, v93, v83
	v_fmac_f32_e32 v38, v27, v82
	v_add_u32_e32 v27, v56, v72
	ds_read_b32 v27, v27
	v_mul_f32_e32 v40, v99, v85
	v_add_f32_e32 v56, v16, v34
	v_mul_f32_e32 v72, v97, v81
	v_fmac_f32_e32 v40, v25, v84
	s_waitcnt lgkmcnt(0)
	v_fma_f32 v61, -0.5, v56, v27
	v_fmac_f32_e32 v72, v21, v80
	v_mul_f32_e32 v21, v101, v87
	v_sub_f32_e32 v25, v38, v40
	v_mov_b32_e32 v59, v61
	v_fmac_f32_e32 v21, v23, v86
	v_fmac_f32_e32 v59, 0x3f737871, v25
	v_sub_f32_e32 v23, v72, v21
	v_fmac_f32_e32 v61, 0xbf737871, v25
	v_fmac_f32_e32 v59, 0xbf167918, v23
	;; [unrolled: 1-line block ×3, first 2 shown]
	global_load_dwordx4 v[88:91], v[57:58], off offset:16
	v_fmac_f32_e32 v59, 0x3e9e377a, v12
	v_fmac_f32_e32 v61, 0x3e9e377a, v12
	v_sub_f32_e32 v12, v16, v14
	v_sub_f32_e32 v56, v34, v18
	v_add_f32_e32 v12, v12, v56
	v_add_f32_e32 v56, v14, v18
	v_fma_f32 v83, -0.5, v56, v27
	v_mov_b32_e32 v57, v83
	v_fmac_f32_e32 v57, 0xbf737871, v23
	v_fmac_f32_e32 v83, 0x3f737871, v23
	;; [unrolled: 1-line block ×6, first 2 shown]
	v_add_f32_e32 v12, v16, v27
	v_add_f32_e32 v12, v14, v12
	;; [unrolled: 1-line block ×4, first 2 shown]
	v_sub_f32_e32 v12, v38, v72
	v_sub_f32_e32 v23, v40, v21
	v_add_f32_e32 v12, v12, v23
	v_add_f32_e32 v23, v72, v21
	v_fma_f32 v60, -0.5, v23, v78
	v_sub_f32_e32 v14, v14, v18
	v_mov_b32_e32 v58, v60
	v_sub_f32_e32 v16, v16, v34
	v_fmac_f32_e32 v58, 0xbf737871, v14
	v_fmac_f32_e32 v60, 0x3f737871, v14
	v_fmac_f32_e32 v58, 0x3f167918, v16
	v_fmac_f32_e32 v60, 0xbf167918, v16
	v_fmac_f32_e32 v58, 0x3e9e377a, v12
	v_fmac_f32_e32 v60, 0x3e9e377a, v12
	v_sub_f32_e32 v12, v72, v38
	v_sub_f32_e32 v18, v21, v40
	v_add_f32_e32 v12, v12, v18
	v_add_f32_e32 v18, v38, v40
	v_fma_f32 v82, -0.5, v18, v78
	v_mov_b32_e32 v56, v82
	v_fmac_f32_e32 v56, 0x3f737871, v16
	v_fmac_f32_e32 v82, 0xbf737871, v16
	;; [unrolled: 1-line block ×6, first 2 shown]
	v_add_f32_e32 v12, v78, v72
	v_add_f32_e32 v12, v38, v12
	;; [unrolled: 1-line block ×4, first 2 shown]
	s_waitcnt vmcnt(1)
	v_mul_f32_e32 v12, v26, v69
	v_fma_f32 v14, v68, v92, -v12
	v_mul_f32_e32 v12, v20, v67
	v_fma_f32 v16, v66, v96, -v12
	v_lshlrev_b32_e32 v12, 2, v65
	v_lshlrev_b64 v[12:13], 3, v[12:13]
	v_sub_f32_e32 v18, v14, v16
	v_add_co_u32_e32 v23, vcc, s12, v12
	v_addc_co_u32_e32 v25, vcc, v70, v13, vcc
	v_add_co_u32_e32 v12, vcc, s6, v23
	v_addc_co_u32_e32 v13, vcc, 0, v25, vcc
	global_load_dwordx4 v[72:75], v[12:13], off offset:1880
	v_add_co_u32_e32 v12, vcc, s0, v23
	v_addc_co_u32_e32 v13, vcc, 0, v25, vcc
	global_load_dwordx4 v[78:81], v[12:13], off offset:16
	v_mul_f32_e32 v38, v92, v69
	v_fmac_f32_e32 v38, v26, v68
	s_mov_b32 s0, 0x57619f1
	s_waitcnt vmcnt(2)
	v_mul_f32_e32 v21, v24, v89
	v_mul_f32_e32 v12, v22, v91
	v_fma_f32 v34, v88, v98, -v21
	v_fma_f32 v12, v90, v100, -v12
	v_sub_f32_e32 v13, v34, v12
	v_add_f32_e32 v18, v18, v13
	v_add_u32_e32 v13, v63, v71
	ds_read_b32 v26, v13
	v_mul_f32_e32 v40, v98, v89
	v_add_f32_e32 v13, v16, v12
	v_mul_f32_e32 v63, v96, v67
	v_fmac_f32_e32 v40, v24, v88
	s_waitcnt lgkmcnt(0)
	v_fma_f32 v13, -0.5, v13, v26
	v_fmac_f32_e32 v63, v20, v66
	v_mul_f32_e32 v66, v100, v91
	v_sub_f32_e32 v24, v38, v40
	v_mov_b32_e32 v21, v13
	v_fmac_f32_e32 v66, v22, v90
	v_fmac_f32_e32 v21, 0x3f737871, v24
	v_sub_f32_e32 v20, v63, v66
	v_fmac_f32_e32 v13, 0xbf737871, v24
	v_fmac_f32_e32 v21, 0xbf167918, v20
	;; [unrolled: 1-line block ×5, first 2 shown]
	v_sub_f32_e32 v18, v16, v14
	v_sub_f32_e32 v22, v12, v34
	v_add_f32_e32 v18, v18, v22
	v_add_f32_e32 v22, v14, v34
	v_fma_f32 v23, -0.5, v22, v26
	v_mov_b32_e32 v25, v23
	v_fmac_f32_e32 v25, 0xbf737871, v20
	v_fmac_f32_e32 v23, 0x3f737871, v20
	;; [unrolled: 1-line block ×6, first 2 shown]
	v_add_f32_e32 v18, v16, v26
	v_add_f32_e32 v18, v14, v18
	;; [unrolled: 1-line block ×4, first 2 shown]
	v_sub_f32_e32 v16, v16, v12
	v_add_f32_e32 v12, v63, v66
	v_sub_f32_e32 v18, v38, v63
	v_sub_f32_e32 v20, v40, v66
	v_fma_f32 v12, -0.5, v12, v77
	v_add_f32_e32 v18, v18, v20
	v_sub_f32_e32 v14, v14, v34
	v_mov_b32_e32 v20, v12
	v_fmac_f32_e32 v20, 0xbf737871, v14
	v_fmac_f32_e32 v12, 0x3f737871, v14
	;; [unrolled: 1-line block ×6, first 2 shown]
	v_sub_f32_e32 v18, v63, v38
	v_sub_f32_e32 v22, v66, v40
	v_add_f32_e32 v18, v18, v22
	v_add_f32_e32 v22, v38, v40
	v_fma_f32 v22, -0.5, v22, v77
	v_mov_b32_e32 v24, v22
	v_fmac_f32_e32 v24, 0x3f737871, v16
	v_fmac_f32_e32 v22, 0xbf737871, v16
	v_add_u32_e32 v16, v62, v64
	ds_read_b32 v34, v16
	v_fmac_f32_e32 v24, 0x3f167918, v14
	v_fmac_f32_e32 v22, 0xbf167918, v14
	v_add_f32_e32 v14, v77, v63
	v_add_f32_e32 v14, v38, v14
	v_fmac_f32_e32 v24, 0x3e9e377a, v18
	v_fmac_f32_e32 v22, 0x3e9e377a, v18
	v_add_f32_e32 v14, v14, v40
	s_waitcnt vmcnt(0)
	v_mul_f32_e32 v18, v17, v79
	v_add_f32_e32 v26, v14, v66
	v_mul_f32_e32 v14, v19, v75
	v_mul_f32_e32 v16, v76, v73
	v_fma_f32 v64, v78, v39, -v18
	v_mul_f32_e32 v18, v15, v81
	v_fma_f32 v14, v74, v41, -v14
	s_waitcnt lgkmcnt(0)
	v_fma_f32 v62, v72, v34, -v16
	v_fma_f32 v66, v80, v37, -v18
	v_sub_f32_e32 v16, v14, v62
	v_sub_f32_e32 v18, v64, v66
	v_mul_f32_e32 v41, v41, v75
	v_add_f32_e32 v38, v16, v18
	v_fmac_f32_e32 v41, v19, v74
	v_mul_f32_e32 v19, v39, v79
	v_add_f32_e32 v16, v62, v66
	v_fmac_f32_e32 v19, v17, v78
	v_fma_f32 v16, -0.5, v16, v94
	v_mul_f32_e32 v34, v34, v73
	v_mul_f32_e32 v69, v37, v81
	v_sub_f32_e32 v17, v41, v19
	v_mov_b32_e32 v18, v16
	v_fmac_f32_e32 v34, v76, v72
	v_fmac_f32_e32 v69, v15, v80
	;; [unrolled: 1-line block ×3, first 2 shown]
	v_sub_f32_e32 v15, v34, v69
	v_fmac_f32_e32 v16, 0xbf737871, v17
	v_fmac_f32_e32 v18, 0xbf167918, v15
	;; [unrolled: 1-line block ×5, first 2 shown]
	v_sub_f32_e32 v37, v62, v14
	v_sub_f32_e32 v38, v66, v64
	v_add_f32_e32 v37, v37, v38
	v_add_f32_e32 v38, v14, v64
	v_fma_f32 v38, -0.5, v38, v94
	v_mov_b32_e32 v40, v38
	v_fmac_f32_e32 v40, 0xbf737871, v15
	v_fmac_f32_e32 v38, 0x3f737871, v15
	v_add_f32_e32 v15, v62, v94
	v_add_f32_e32 v15, v14, v15
	;; [unrolled: 1-line block ×3, first 2 shown]
	v_fmac_f32_e32 v40, 0xbf167918, v17
	v_fmac_f32_e32 v38, 0x3f167918, v17
	v_add_f32_e32 v63, v66, v15
	v_sub_f32_e32 v15, v41, v34
	v_sub_f32_e32 v17, v19, v69
	v_fmac_f32_e32 v40, 0x3e9e377a, v37
	v_fmac_f32_e32 v38, 0x3e9e377a, v37
	v_add_f32_e32 v37, v15, v17
	v_add_f32_e32 v15, v34, v69
	v_fma_f32 v15, -0.5, v15, v95
	v_sub_f32_e32 v14, v14, v64
	v_mov_b32_e32 v17, v15
	v_sub_f32_e32 v62, v62, v66
	v_fmac_f32_e32 v17, 0xbf737871, v14
	v_fmac_f32_e32 v15, 0x3f737871, v14
	v_fmac_f32_e32 v17, 0x3f167918, v62
	v_fmac_f32_e32 v15, 0xbf167918, v62
	v_fmac_f32_e32 v17, 0x3e9e377a, v37
	v_fmac_f32_e32 v15, 0x3e9e377a, v37
	v_sub_f32_e32 v37, v34, v41
	v_sub_f32_e32 v39, v69, v19
	v_mul_hi_u32 v66, v65, s0
	v_add_f32_e32 v64, v37, v39
	v_add_f32_e32 v37, v41, v19
	v_fma_f32 v37, -0.5, v37, v95
	v_mov_b32_e32 v39, v37
	v_fmac_f32_e32 v39, 0x3f737871, v62
	v_fmac_f32_e32 v37, 0xbf737871, v62
	v_lshrrev_b32_e32 v62, 4, v66
	v_mul_u32_u24_e32 v62, 0x2ee, v62
	v_sub_u32_e32 v70, v65, v62
	v_mad_u64_u32 v[66:67], s[4:5], s2, v70, 0
	v_fmac_f32_e32 v39, 0x3f167918, v14
	v_fmac_f32_e32 v37, 0xbf167918, v14
	v_add_f32_e32 v34, v95, v34
	v_mov_b32_e32 v14, v67
	v_mad_u64_u32 v[67:68], s[4:5], s3, v70, v[14:15]
	v_add_f32_e32 v14, v41, v34
	v_add_f32_e32 v14, v14, v19
	;; [unrolled: 1-line block ×3, first 2 shown]
	v_mov_b32_e32 v14, s11
	v_add_co_u32_e32 v19, vcc, s10, v10
	v_addc_co_u32_e32 v14, vcc, v14, v11, vcc
	v_add_u32_e32 v34, 0x2ee, v70
	v_mad_u64_u32 v[10:11], s[4:5], s2, v34, 0
	v_add_co_u32_e32 v8, vcc, v19, v8
	v_lshlrev_b64 v[66:67], 3, v[66:67]
	v_addc_co_u32_e32 v9, vcc, v14, v9, vcc
	v_add_co_u32_e32 v66, vcc, v8, v66
	v_addc_co_u32_e32 v67, vcc, v9, v67, vcc
	v_add_u32_e32 v19, 0x5dc, v70
	v_mad_u64_u32 v[68:69], s[4:5], s3, v34, v[11:12]
	global_store_dwordx2 v[66:67], v[62:63], off
	v_mad_u64_u32 v[62:63], s[4:5], s2, v19, 0
	v_mov_b32_e32 v11, v68
	v_fmac_f32_e32 v39, 0x3e9e377a, v64
	v_mov_b32_e32 v14, v63
	v_fmac_f32_e32 v37, 0x3e9e377a, v64
	v_lshlrev_b64 v[10:11], 3, v[10:11]
	v_mad_u64_u32 v[63:64], s[4:5], s3, v19, v[14:15]
	v_add_co_u32_e32 v10, vcc, v8, v10
	v_addc_co_u32_e32 v11, vcc, v9, v11, vcc
	v_add_u32_e32 v19, 0x8ca, v70
	v_mad_u64_u32 v[66:67], s[4:5], s2, v19, 0
	global_store_dwordx2 v[10:11], v[37:38], off
	v_lshlrev_b64 v[10:11], 3, v[62:63]
	v_mov_b32_e32 v14, v67
	v_add_co_u32_e32 v10, vcc, v8, v10
	v_addc_co_u32_e32 v11, vcc, v9, v11, vcc
	global_store_dwordx2 v[10:11], v[15:16], off
	v_add_u32_e32 v16, 0xbb8, v70
	v_mad_u64_u32 v[37:38], s[4:5], s3, v19, v[14:15]
	v_mad_u64_u32 v[14:15], s[4:5], s2, v16, 0
	v_mov_b32_e32 v67, v37
	v_lshlrev_b64 v[10:11], 3, v[66:67]
	v_mad_u64_u32 v[15:16], s[4:5], s3, v16, v[15:16]
	v_add_u32_e32 v16, 0x7d, v65
	v_mul_hi_u32 v19, v16, s0
	v_add_co_u32_e32 v10, vcc, v8, v10
	v_addc_co_u32_e32 v11, vcc, v9, v11, vcc
	global_store_dwordx2 v[10:11], v[17:18], off
	v_lshlrev_b64 v[10:11], 3, v[14:15]
	v_lshrrev_b32_e32 v14, 4, v19
	v_mul_u32_u24_e32 v15, 0x2ee, v14
	v_sub_u32_e32 v15, v16, v15
	v_mad_u32_u24 v18, v14, s1, v15
	v_mad_u64_u32 v[14:15], s[4:5], s2, v18, 0
	v_add_u32_e32 v19, 0x2ee, v18
	v_add_co_u32_e32 v10, vcc, v8, v10
	v_mad_u64_u32 v[15:16], s[4:5], s3, v18, v[15:16]
	v_mad_u64_u32 v[16:17], s[4:5], s2, v19, 0
	v_addc_co_u32_e32 v11, vcc, v9, v11, vcc
	global_store_dwordx2 v[10:11], v[39:40], off
	v_lshlrev_b64 v[10:11], 3, v[14:15]
	v_mov_b32_e32 v14, v17
	v_mad_u64_u32 v[14:15], s[4:5], s3, v19, v[14:15]
	v_add_co_u32_e32 v10, vcc, v8, v10
	v_addc_co_u32_e32 v11, vcc, v9, v11, vcc
	v_mov_b32_e32 v17, v14
	global_store_dwordx2 v[10:11], v[26:27], off
	v_lshlrev_b64 v[10:11], 3, v[16:17]
	v_add_u32_e32 v16, 0x5dc, v18
	v_mad_u64_u32 v[14:15], s[4:5], s2, v16, 0
	v_add_u32_e32 v19, 0x8ca, v18
	v_add_co_u32_e32 v10, vcc, v8, v10
	v_mad_u64_u32 v[15:16], s[4:5], s3, v16, v[15:16]
	v_mad_u64_u32 v[16:17], s[4:5], s2, v19, 0
	v_addc_co_u32_e32 v11, vcc, v9, v11, vcc
	global_store_dwordx2 v[10:11], v[22:23], off
	v_lshlrev_b64 v[10:11], 3, v[14:15]
	v_mov_b32_e32 v14, v17
	v_mad_u64_u32 v[14:15], s[4:5], s3, v19, v[14:15]
	v_add_co_u32_e32 v10, vcc, v8, v10
	v_addc_co_u32_e32 v11, vcc, v9, v11, vcc
	v_mov_b32_e32 v17, v14
	v_add_u32_e32 v14, 0xbb8, v18
	global_store_dwordx2 v[10:11], v[12:13], off
	v_mad_u64_u32 v[12:13], s[4:5], s2, v14, 0
	v_lshlrev_b64 v[10:11], 3, v[16:17]
	v_mad_u64_u32 v[13:14], s[4:5], s3, v14, v[13:14]
	v_add_u32_e32 v14, 0xfa, v65
	v_mul_hi_u32 v15, v14, s0
	v_add_co_u32_e32 v10, vcc, v8, v10
	v_addc_co_u32_e32 v11, vcc, v9, v11, vcc
	global_store_dwordx2 v[10:11], v[20:21], off
	v_lshlrev_b64 v[10:11], 3, v[12:13]
	v_lshrrev_b32_e32 v12, 4, v15
	v_mul_u32_u24_e32 v13, 0x2ee, v12
	v_sub_u32_e32 v13, v14, v13
	v_mad_u32_u24 v16, v12, s1, v13
	v_mad_u64_u32 v[12:13], s[4:5], s2, v16, 0
	v_add_u32_e32 v17, 0x2ee, v16
	v_add_co_u32_e32 v10, vcc, v8, v10
	v_mad_u64_u32 v[13:14], s[4:5], s3, v16, v[13:14]
	v_mad_u64_u32 v[14:15], s[4:5], s2, v17, 0
	v_addc_co_u32_e32 v11, vcc, v9, v11, vcc
	global_store_dwordx2 v[10:11], v[24:25], off
	v_lshlrev_b64 v[10:11], 3, v[12:13]
	v_mov_b32_e32 v12, v15
	v_mad_u64_u32 v[12:13], s[4:5], s3, v17, v[12:13]
	v_add_co_u32_e32 v10, vcc, v8, v10
	v_addc_co_u32_e32 v11, vcc, v9, v11, vcc
	v_mov_b32_e32 v15, v12
	global_store_dwordx2 v[10:11], v[84:85], off
	v_lshlrev_b64 v[10:11], 3, v[14:15]
	v_add_u32_e32 v14, 0x5dc, v16
	v_mad_u64_u32 v[12:13], s[4:5], s2, v14, 0
	v_add_u32_e32 v17, 0x8ca, v16
	v_add_co_u32_e32 v10, vcc, v8, v10
	v_mad_u64_u32 v[13:14], s[4:5], s3, v14, v[13:14]
	v_mad_u64_u32 v[14:15], s[4:5], s2, v17, 0
	v_addc_co_u32_e32 v11, vcc, v9, v11, vcc
	global_store_dwordx2 v[10:11], v[82:83], off
	v_lshlrev_b64 v[10:11], 3, v[12:13]
	v_mov_b32_e32 v12, v15
	v_mad_u64_u32 v[12:13], s[4:5], s3, v17, v[12:13]
	v_add_co_u32_e32 v10, vcc, v8, v10
	v_addc_co_u32_e32 v11, vcc, v9, v11, vcc
	v_mov_b32_e32 v15, v12
	global_store_dwordx2 v[10:11], v[60:61], off
	v_lshlrev_b64 v[10:11], 3, v[14:15]
	v_add_u32_e32 v14, 0xbb8, v16
	v_mad_u64_u32 v[12:13], s[4:5], s2, v14, 0
	v_add_co_u32_e32 v10, vcc, v8, v10
	v_mad_u64_u32 v[13:14], s[4:5], s3, v14, v[13:14]
	v_add_u32_e32 v14, 0x177, v65
	v_mul_hi_u32 v15, v14, s0
	v_addc_co_u32_e32 v11, vcc, v9, v11, vcc
	global_store_dwordx2 v[10:11], v[58:59], off
	v_lshlrev_b64 v[10:11], 3, v[12:13]
	v_lshrrev_b32_e32 v12, 4, v15
	v_mul_u32_u24_e32 v13, 0x2ee, v12
	v_sub_u32_e32 v13, v14, v13
	v_mad_u32_u24 v16, v12, s1, v13
	v_mad_u64_u32 v[12:13], s[4:5], s2, v16, 0
	v_add_u32_e32 v17, 0x2ee, v16
	v_add_co_u32_e32 v10, vcc, v8, v10
	v_mad_u64_u32 v[13:14], s[4:5], s3, v16, v[13:14]
	v_mad_u64_u32 v[14:15], s[4:5], s2, v17, 0
	v_addc_co_u32_e32 v11, vcc, v9, v11, vcc
	global_store_dwordx2 v[10:11], v[56:57], off
	v_lshlrev_b64 v[10:11], 3, v[12:13]
	v_mov_b32_e32 v12, v15
	v_mad_u64_u32 v[12:13], s[4:5], s3, v17, v[12:13]
	v_add_co_u32_e32 v10, vcc, v8, v10
	v_addc_co_u32_e32 v11, vcc, v9, v11, vcc
	v_mov_b32_e32 v15, v12
	global_store_dwordx2 v[10:11], v[54:55], off
	v_lshlrev_b64 v[10:11], 3, v[14:15]
	v_add_u32_e32 v14, 0x5dc, v16
	v_mad_u64_u32 v[12:13], s[4:5], s2, v14, 0
	v_add_u32_e32 v17, 0x8ca, v16
	v_add_co_u32_e32 v10, vcc, v8, v10
	v_mad_u64_u32 v[13:14], s[4:5], s3, v14, v[13:14]
	v_mad_u64_u32 v[14:15], s[4:5], s2, v17, 0
	v_addc_co_u32_e32 v11, vcc, v9, v11, vcc
	global_store_dwordx2 v[10:11], v[52:53], off
	v_lshlrev_b64 v[10:11], 3, v[12:13]
	v_mov_b32_e32 v12, v15
	v_mad_u64_u32 v[12:13], s[4:5], s3, v17, v[12:13]
	v_add_co_u32_e32 v10, vcc, v8, v10
	v_addc_co_u32_e32 v11, vcc, v9, v11, vcc
	v_mov_b32_e32 v15, v12
	global_store_dwordx2 v[10:11], v[32:33], off
	v_lshlrev_b64 v[10:11], 3, v[14:15]
	v_add_u32_e32 v14, 0xbb8, v16
	v_mad_u64_u32 v[12:13], s[4:5], s2, v14, 0
	v_add_co_u32_e32 v10, vcc, v8, v10
	v_mad_u64_u32 v[13:14], s[4:5], s3, v14, v[13:14]
	v_add_u32_e32 v14, 0x1f4, v65
	v_mul_hi_u32 v15, v14, s0
	v_addc_co_u32_e32 v11, vcc, v9, v11, vcc
	global_store_dwordx2 v[10:11], v[30:31], off
	v_lshlrev_b64 v[10:11], 3, v[12:13]
	v_lshrrev_b32_e32 v12, 4, v15
	v_mul_u32_u24_e32 v13, 0x2ee, v12
	v_sub_u32_e32 v13, v14, v13
	v_mad_u32_u24 v16, v12, s1, v13
	v_mad_u64_u32 v[12:13], s[4:5], s2, v16, 0
	v_add_u32_e32 v17, 0x2ee, v16
	v_add_co_u32_e32 v10, vcc, v8, v10
	v_mad_u64_u32 v[13:14], s[4:5], s3, v16, v[13:14]
	v_mad_u64_u32 v[14:15], s[4:5], s2, v17, 0
	v_addc_co_u32_e32 v11, vcc, v9, v11, vcc
	global_store_dwordx2 v[10:11], v[28:29], off
	v_lshlrev_b64 v[10:11], 3, v[12:13]
	v_mov_b32_e32 v12, v15
	v_mad_u64_u32 v[12:13], s[4:5], s3, v17, v[12:13]
	v_add_co_u32_e32 v10, vcc, v8, v10
	v_addc_co_u32_e32 v11, vcc, v9, v11, vcc
	v_mov_b32_e32 v15, v12
	global_store_dwordx2 v[10:11], v[50:51], off
	v_lshlrev_b64 v[10:11], 3, v[14:15]
	v_add_u32_e32 v14, 0x5dc, v16
	v_mad_u64_u32 v[12:13], s[4:5], s2, v14, 0
	v_add_u32_e32 v17, 0x8ca, v16
	v_add_co_u32_e32 v10, vcc, v8, v10
	v_mad_u64_u32 v[13:14], s[4:5], s3, v14, v[13:14]
	v_mad_u64_u32 v[14:15], s[4:5], s2, v17, 0
	v_addc_co_u32_e32 v11, vcc, v9, v11, vcc
	global_store_dwordx2 v[10:11], v[48:49], off
	v_lshlrev_b64 v[10:11], 3, v[12:13]
	v_mov_b32_e32 v12, v15
	v_mad_u64_u32 v[12:13], s[4:5], s3, v17, v[12:13]
	v_add_co_u32_e32 v10, vcc, v8, v10
	v_addc_co_u32_e32 v11, vcc, v9, v11, vcc
	v_mov_b32_e32 v15, v12
	global_store_dwordx2 v[10:11], v[46:47], off
	v_lshlrev_b64 v[10:11], 3, v[14:15]
	v_add_u32_e32 v14, 0xbb8, v16
	v_mad_u64_u32 v[12:13], s[4:5], s2, v14, 0
	v_add_u32_e32 v15, 0x271, v65
	v_mul_hi_u32 v16, v15, s0
	v_mad_u64_u32 v[13:14], s[4:5], s3, v14, v[13:14]
	v_add_co_u32_e32 v10, vcc, v8, v10
	v_lshrrev_b32_e32 v14, 4, v16
	v_mul_u32_u24_e32 v16, 0x2ee, v14
	v_sub_u32_e32 v15, v15, v16
	v_mad_u32_u24 v16, v14, s1, v15
	v_mad_u64_u32 v[14:15], s[0:1], s2, v16, 0
	v_addc_co_u32_e32 v11, vcc, v9, v11, vcc
	global_store_dwordx2 v[10:11], v[35:36], off
	v_lshlrev_b64 v[10:11], 3, v[12:13]
	v_mov_b32_e32 v12, v15
	v_mad_u64_u32 v[12:13], s[0:1], s3, v16, v[12:13]
	v_add_co_u32_e32 v10, vcc, v8, v10
	v_addc_co_u32_e32 v11, vcc, v9, v11, vcc
	v_mov_b32_e32 v15, v12
	global_store_dwordx2 v[10:11], v[44:45], off
	v_lshlrev_b64 v[10:11], 3, v[14:15]
	v_add_u32_e32 v14, 0x2ee, v16
	v_mad_u64_u32 v[12:13], s[0:1], s2, v14, 0
	v_add_u32_e32 v17, 0x5dc, v16
	v_add_co_u32_e32 v10, vcc, v8, v10
	v_mad_u64_u32 v[13:14], s[0:1], s3, v14, v[13:14]
	v_mad_u64_u32 v[14:15], s[0:1], s2, v17, 0
	v_addc_co_u32_e32 v11, vcc, v9, v11, vcc
	global_store_dwordx2 v[10:11], v[42:43], off
	v_lshlrev_b64 v[10:11], 3, v[12:13]
	v_mov_b32_e32 v12, v15
	v_mad_u64_u32 v[12:13], s[0:1], s3, v17, v[12:13]
	v_add_co_u32_e32 v10, vcc, v8, v10
	v_addc_co_u32_e32 v11, vcc, v9, v11, vcc
	v_mov_b32_e32 v15, v12
	v_add_u32_e32 v12, 0x8ca, v16
	global_store_dwordx2 v[10:11], v[6:7], off
	v_mad_u64_u32 v[10:11], s[0:1], s2, v12, 0
	v_lshlrev_b64 v[6:7], 3, v[14:15]
	v_add_u32_e32 v14, 0xbb8, v16
	v_mad_u64_u32 v[11:12], s[0:1], s3, v12, v[11:12]
	v_mad_u64_u32 v[12:13], s[0:1], s2, v14, 0
	v_add_co_u32_e32 v6, vcc, v8, v6
	v_addc_co_u32_e32 v7, vcc, v9, v7, vcc
	global_store_dwordx2 v[6:7], v[4:5], off
	v_mov_b32_e32 v6, v13
	v_mad_u64_u32 v[6:7], s[0:1], s3, v14, v[6:7]
	v_lshlrev_b64 v[4:5], 3, v[10:11]
	v_add_co_u32_e32 v4, vcc, v8, v4
	v_addc_co_u32_e32 v5, vcc, v9, v5, vcc
	v_mov_b32_e32 v13, v6
	global_store_dwordx2 v[4:5], v[2:3], off
	v_lshlrev_b64 v[2:3], 3, v[12:13]
	v_add_co_u32_e32 v2, vcc, v8, v2
	v_addc_co_u32_e32 v3, vcc, v9, v3, vcc
	global_store_dwordx2 v[2:3], v[0:1], off
.LBB0_15:
	s_endpgm
	.section	.rodata,"a",@progbits
	.p2align	6, 0x0
	.amdhsa_kernel fft_rtc_back_len3750_factors_3_5_5_10_5_wgs_125_tpt_125_halfLds_sp_op_CI_CI_sbrr_dirReg
		.amdhsa_group_segment_fixed_size 0
		.amdhsa_private_segment_fixed_size 0
		.amdhsa_kernarg_size 104
		.amdhsa_user_sgpr_count 6
		.amdhsa_user_sgpr_private_segment_buffer 1
		.amdhsa_user_sgpr_dispatch_ptr 0
		.amdhsa_user_sgpr_queue_ptr 0
		.amdhsa_user_sgpr_kernarg_segment_ptr 1
		.amdhsa_user_sgpr_dispatch_id 0
		.amdhsa_user_sgpr_flat_scratch_init 0
		.amdhsa_user_sgpr_private_segment_size 0
		.amdhsa_uses_dynamic_stack 0
		.amdhsa_system_sgpr_private_segment_wavefront_offset 0
		.amdhsa_system_sgpr_workgroup_id_x 1
		.amdhsa_system_sgpr_workgroup_id_y 0
		.amdhsa_system_sgpr_workgroup_id_z 0
		.amdhsa_system_sgpr_workgroup_info 0
		.amdhsa_system_vgpr_workitem_id 0
		.amdhsa_next_free_vgpr 147
		.amdhsa_next_free_sgpr 32
		.amdhsa_reserve_vcc 1
		.amdhsa_reserve_flat_scratch 0
		.amdhsa_float_round_mode_32 0
		.amdhsa_float_round_mode_16_64 0
		.amdhsa_float_denorm_mode_32 3
		.amdhsa_float_denorm_mode_16_64 3
		.amdhsa_dx10_clamp 1
		.amdhsa_ieee_mode 1
		.amdhsa_fp16_overflow 0
		.amdhsa_exception_fp_ieee_invalid_op 0
		.amdhsa_exception_fp_denorm_src 0
		.amdhsa_exception_fp_ieee_div_zero 0
		.amdhsa_exception_fp_ieee_overflow 0
		.amdhsa_exception_fp_ieee_underflow 0
		.amdhsa_exception_fp_ieee_inexact 0
		.amdhsa_exception_int_div_zero 0
	.end_amdhsa_kernel
	.text
.Lfunc_end0:
	.size	fft_rtc_back_len3750_factors_3_5_5_10_5_wgs_125_tpt_125_halfLds_sp_op_CI_CI_sbrr_dirReg, .Lfunc_end0-fft_rtc_back_len3750_factors_3_5_5_10_5_wgs_125_tpt_125_halfLds_sp_op_CI_CI_sbrr_dirReg
                                        ; -- End function
	.section	.AMDGPU.csdata,"",@progbits
; Kernel info:
; codeLenInByte = 21460
; NumSgprs: 36
; NumVgprs: 147
; ScratchSize: 0
; MemoryBound: 0
; FloatMode: 240
; IeeeMode: 1
; LDSByteSize: 0 bytes/workgroup (compile time only)
; SGPRBlocks: 4
; VGPRBlocks: 36
; NumSGPRsForWavesPerEU: 36
; NumVGPRsForWavesPerEU: 147
; Occupancy: 1
; WaveLimiterHint : 1
; COMPUTE_PGM_RSRC2:SCRATCH_EN: 0
; COMPUTE_PGM_RSRC2:USER_SGPR: 6
; COMPUTE_PGM_RSRC2:TRAP_HANDLER: 0
; COMPUTE_PGM_RSRC2:TGID_X_EN: 1
; COMPUTE_PGM_RSRC2:TGID_Y_EN: 0
; COMPUTE_PGM_RSRC2:TGID_Z_EN: 0
; COMPUTE_PGM_RSRC2:TIDIG_COMP_CNT: 0
	.type	__hip_cuid_5b8634b82aaa059,@object ; @__hip_cuid_5b8634b82aaa059
	.section	.bss,"aw",@nobits
	.globl	__hip_cuid_5b8634b82aaa059
__hip_cuid_5b8634b82aaa059:
	.byte	0                               ; 0x0
	.size	__hip_cuid_5b8634b82aaa059, 1

	.ident	"AMD clang version 19.0.0git (https://github.com/RadeonOpenCompute/llvm-project roc-6.4.0 25133 c7fe45cf4b819c5991fe208aaa96edf142730f1d)"
	.section	".note.GNU-stack","",@progbits
	.addrsig
	.addrsig_sym __hip_cuid_5b8634b82aaa059
	.amdgpu_metadata
---
amdhsa.kernels:
  - .args:
      - .actual_access:  read_only
        .address_space:  global
        .offset:         0
        .size:           8
        .value_kind:     global_buffer
      - .offset:         8
        .size:           8
        .value_kind:     by_value
      - .actual_access:  read_only
        .address_space:  global
        .offset:         16
        .size:           8
        .value_kind:     global_buffer
      - .actual_access:  read_only
        .address_space:  global
        .offset:         24
        .size:           8
        .value_kind:     global_buffer
      - .actual_access:  read_only
        .address_space:  global
        .offset:         32
        .size:           8
        .value_kind:     global_buffer
      - .offset:         40
        .size:           8
        .value_kind:     by_value
      - .actual_access:  read_only
        .address_space:  global
        .offset:         48
        .size:           8
        .value_kind:     global_buffer
      - .actual_access:  read_only
        .address_space:  global
        .offset:         56
        .size:           8
        .value_kind:     global_buffer
      - .offset:         64
        .size:           4
        .value_kind:     by_value
      - .actual_access:  read_only
        .address_space:  global
        .offset:         72
        .size:           8
        .value_kind:     global_buffer
      - .actual_access:  read_only
        .address_space:  global
        .offset:         80
        .size:           8
        .value_kind:     global_buffer
      - .actual_access:  read_only
        .address_space:  global
        .offset:         88
        .size:           8
        .value_kind:     global_buffer
      - .actual_access:  write_only
        .address_space:  global
        .offset:         96
        .size:           8
        .value_kind:     global_buffer
    .group_segment_fixed_size: 0
    .kernarg_segment_align: 8
    .kernarg_segment_size: 104
    .language:       OpenCL C
    .language_version:
      - 2
      - 0
    .max_flat_workgroup_size: 125
    .name:           fft_rtc_back_len3750_factors_3_5_5_10_5_wgs_125_tpt_125_halfLds_sp_op_CI_CI_sbrr_dirReg
    .private_segment_fixed_size: 0
    .sgpr_count:     36
    .sgpr_spill_count: 0
    .symbol:         fft_rtc_back_len3750_factors_3_5_5_10_5_wgs_125_tpt_125_halfLds_sp_op_CI_CI_sbrr_dirReg.kd
    .uniform_work_group_size: 1
    .uses_dynamic_stack: false
    .vgpr_count:     147
    .vgpr_spill_count: 0
    .wavefront_size: 64
amdhsa.target:   amdgcn-amd-amdhsa--gfx906
amdhsa.version:
  - 1
  - 2
...

	.end_amdgpu_metadata
